;; amdgpu-corpus repo=ROCm/rocFFT kind=compiled arch=gfx906 opt=O3
	.text
	.amdgcn_target "amdgcn-amd-amdhsa--gfx906"
	.amdhsa_code_object_version 6
	.protected	bluestein_single_fwd_len1666_dim1_half_op_CI_CI ; -- Begin function bluestein_single_fwd_len1666_dim1_half_op_CI_CI
	.globl	bluestein_single_fwd_len1666_dim1_half_op_CI_CI
	.p2align	8
	.type	bluestein_single_fwd_len1666_dim1_half_op_CI_CI,@function
bluestein_single_fwd_len1666_dim1_half_op_CI_CI: ; @bluestein_single_fwd_len1666_dim1_half_op_CI_CI
; %bb.0:
	s_load_dwordx4 s[0:3], s[4:5], 0x28
	v_mul_u32_u24_e32 v1, 0x227, v0
	v_add_u32_sdwa v16, s6, v1 dst_sel:DWORD dst_unused:UNUSED_PAD src0_sel:DWORD src1_sel:WORD_1
	v_mov_b32_e32 v17, 0
	s_waitcnt lgkmcnt(0)
	v_cmp_gt_u64_e32 vcc, s[0:1], v[16:17]
	s_and_saveexec_b64 s[0:1], vcc
	s_cbranch_execz .LBB0_15
; %bb.1:
	s_load_dwordx2 s[6:7], s[4:5], 0x0
	s_load_dwordx2 s[12:13], s[4:5], 0x38
	s_movk_i32 s0, 0x77
	v_mul_lo_u16_sdwa v1, v1, s0 dst_sel:DWORD dst_unused:UNUSED_PAD src0_sel:WORD_1 src1_sel:DWORD
	v_sub_u16_e32 v43, v0, v1
	s_movk_i32 s0, 0x62
	v_cmp_gt_u16_e64 s[0:1], s0, v43
	v_lshlrev_b32_e32 v41, 2, v43
	s_and_saveexec_b64 s[8:9], s[0:1]
	s_cbranch_execz .LBB0_3
; %bb.2:
	s_load_dwordx2 s[10:11], s[4:5], 0x18
	s_waitcnt lgkmcnt(0)
	v_mov_b32_e32 v12, s7
	v_add_u32_e32 v13, 0x200, v41
	s_load_dwordx4 s[16:19], s[10:11], 0x0
	s_waitcnt lgkmcnt(0)
	v_mad_u64_u32 v[0:1], s[10:11], s18, v16, 0
	v_mad_u64_u32 v[2:3], s[10:11], s16, v43, 0
	;; [unrolled: 1-line block ×4, first 2 shown]
	v_mov_b32_e32 v1, v4
	v_lshlrev_b64 v[0:1], 2, v[0:1]
	v_mov_b32_e32 v3, v5
	v_mov_b32_e32 v6, s3
	v_lshlrev_b64 v[2:3], 2, v[2:3]
	v_add_co_u32_e32 v0, vcc, s2, v0
	v_addc_co_u32_e32 v1, vcc, v6, v1, vcc
	v_add_co_u32_e32 v0, vcc, v0, v2
	s_mul_i32 s2, s17, 0x188
	s_mul_hi_u32 s3, s16, 0x188
	v_addc_co_u32_e32 v1, vcc, v1, v3, vcc
	s_add_i32 s2, s3, s2
	s_mul_i32 s3, s16, 0x188
	v_mov_b32_e32 v3, s2
	v_add_co_u32_e32 v2, vcc, s3, v0
	v_addc_co_u32_e32 v3, vcc, v1, v3, vcc
	global_load_dword v4, v[0:1], off
	global_load_dword v5, v[2:3], off
	global_load_dword v6, v41, s[6:7]
	global_load_dword v7, v41, s[6:7] offset:392
	v_mov_b32_e32 v1, s2
	v_add_co_u32_e32 v0, vcc, s3, v2
	v_addc_co_u32_e32 v1, vcc, v3, v1, vcc
	global_load_dword v2, v[0:1], off
	global_load_dword v3, v41, s[6:7] offset:784
	v_mov_b32_e32 v8, s2
	v_add_co_u32_e32 v0, vcc, s3, v0
	v_addc_co_u32_e32 v1, vcc, v1, v8, vcc
	global_load_dword v8, v[0:1], off
	;; [unrolled: 5-line block ×3, first 2 shown]
	global_load_dword v11, v41, s[6:7] offset:1568
	v_add_co_u32_e32 v18, vcc, s6, v41
	v_addc_co_u32_e32 v12, vcc, 0, v12, vcc
	v_mov_b32_e32 v19, s2
	v_add_co_u32_e32 v0, vcc, s3, v0
	v_addc_co_u32_e32 v1, vcc, v1, v19, vcc
	global_load_dword v14, v41, s[6:7] offset:1960
	global_load_dword v15, v41, s[6:7] offset:2352
	;; [unrolled: 1-line block ×3, first 2 shown]
	global_load_dword v19, v[0:1], off
	v_mov_b32_e32 v20, s2
	v_add_co_u32_e32 v0, vcc, s3, v0
	v_addc_co_u32_e32 v1, vcc, v1, v20, vcc
	global_load_dword v20, v[0:1], off
	v_mov_b32_e32 v21, s2
	v_add_co_u32_e32 v0, vcc, s3, v0
	v_addc_co_u32_e32 v1, vcc, v1, v21, vcc
	s_movk_i32 s10, 0x1000
	v_mov_b32_e32 v27, s2
	s_waitcnt vmcnt(14)
	v_lshrrev_b32_e32 v22, 16, v4
	s_waitcnt vmcnt(12)
	v_mul_f16_sdwa v23, v6, v4 dst_sel:DWORD dst_unused:UNUSED_PAD src0_sel:WORD_1 src1_sel:DWORD
	v_mul_f16_sdwa v24, v6, v22 dst_sel:DWORD dst_unused:UNUSED_PAD src0_sel:WORD_1 src1_sel:DWORD
	v_fma_f16 v22, v6, v22, -v23
	v_lshrrev_b32_e32 v23, 16, v5
	s_waitcnt vmcnt(11)
	v_mul_f16_sdwa v25, v7, v5 dst_sel:DWORD dst_unused:UNUSED_PAD src0_sel:WORD_1 src1_sel:DWORD
	v_fma_f16 v4, v6, v4, v24
	v_mul_f16_sdwa v6, v7, v23 dst_sel:DWORD dst_unused:UNUSED_PAD src0_sel:WORD_1 src1_sel:DWORD
	s_waitcnt vmcnt(10)
	v_lshrrev_b32_e32 v24, 16, v2
	v_fma_f16 v23, v7, v23, -v25
	s_waitcnt vmcnt(9)
	v_mul_f16_sdwa v25, v3, v2 dst_sel:DWORD dst_unused:UNUSED_PAD src0_sel:WORD_1 src1_sel:DWORD
	v_pack_b32_f16 v4, v4, v22
	v_fma_f16 v5, v7, v5, v6
	v_mul_f16_sdwa v6, v3, v24 dst_sel:DWORD dst_unused:UNUSED_PAD src0_sel:WORD_1 src1_sel:DWORD
	s_waitcnt vmcnt(8)
	v_lshrrev_b32_e32 v22, 16, v8
	v_fma_f16 v7, v3, v24, -v25
	s_waitcnt vmcnt(7)
	v_mul_f16_sdwa v24, v9, v8 dst_sel:DWORD dst_unused:UNUSED_PAD src0_sel:WORD_1 src1_sel:DWORD
	v_fma_f16 v2, v3, v2, v6
	v_mul_f16_sdwa v3, v9, v22 dst_sel:DWORD dst_unused:UNUSED_PAD src0_sel:WORD_1 src1_sel:DWORD
	v_fma_f16 v6, v9, v22, -v24
	v_fma_f16 v3, v9, v8, v3
	v_pack_b32_f16 v3, v3, v6
	global_load_dword v6, v[0:1], off
	v_pack_b32_f16 v5, v5, v23
	v_pack_b32_f16 v2, v2, v7
	ds_write2_b32 v41, v4, v5 offset1:98
	ds_write2_b32 v13, v2, v3 offset0:68 offset1:166
	v_mov_b32_e32 v2, s2
	v_add_co_u32_e32 v0, vcc, s3, v0
	v_addc_co_u32_e32 v1, vcc, v1, v2, vcc
	global_load_dword v7, v[0:1], off
	global_load_dword v8, v41, s[6:7] offset:3136
	v_add_co_u32_e32 v0, vcc, s3, v0
	v_addc_co_u32_e32 v1, vcc, v1, v2, vcc
	global_load_dword v9, v[0:1], off
	s_waitcnt vmcnt(10)
	v_lshrrev_b32_e32 v22, 16, v10
	s_waitcnt vmcnt(9)
	v_mul_f16_sdwa v23, v11, v10 dst_sel:DWORD dst_unused:UNUSED_PAD src0_sel:WORD_1 src1_sel:DWORD
	v_mul_f16_sdwa v4, v11, v22 dst_sel:DWORD dst_unused:UNUSED_PAD src0_sel:WORD_1 src1_sel:DWORD
	v_add_co_u32_e32 v0, vcc, s3, v0
	v_fma_f16 v5, v11, v22, -v23
	v_fma_f16 v4, v11, v10, v4
	v_addc_co_u32_e32 v1, vcc, v1, v2, vcc
	global_load_dword v10, v41, s[6:7] offset:3528
	global_load_dword v11, v[0:1], off
	global_load_dword v13, v41, s[6:7] offset:3920
	v_add_co_u32_e32 v0, vcc, s3, v0
	v_addc_co_u32_e32 v1, vcc, v1, v2, vcc
	v_add_co_u32_e32 v2, vcc, s10, v18
	global_load_dword v21, v[0:1], off
	v_addc_co_u32_e32 v3, vcc, 0, v12, vcc
	global_load_dword v12, v[2:3], off offset:216
	v_mov_b32_e32 v18, s2
	v_add_co_u32_e32 v0, vcc, s3, v0
	v_addc_co_u32_e32 v1, vcc, v1, v18, vcc
	global_load_dword v18, v[0:1], off
	global_load_dword v22, v[2:3], off offset:608
	v_mov_b32_e32 v23, s2
	v_add_co_u32_e32 v0, vcc, s3, v0
	v_addc_co_u32_e32 v1, vcc, v1, v23, vcc
	global_load_dword v23, v[0:1], off
	;; [unrolled: 5-line block ×3, first 2 shown]
	global_load_dword v26, v[2:3], off offset:1392
	v_add_co_u32_e32 v0, vcc, s3, v0
	v_addc_co_u32_e32 v1, vcc, v1, v27, vcc
	global_load_dword v27, v[0:1], off
	global_load_dword v28, v[2:3], off offset:1784
	v_pack_b32_f16 v4, v4, v5
	v_mov_b32_e32 v5, s2
	v_add_co_u32_e32 v0, vcc, s3, v0
	v_addc_co_u32_e32 v1, vcc, v1, v5, vcc
	global_load_dword v5, v[0:1], off
	global_load_dword v29, v[2:3], off offset:2176
	s_waitcnt vmcnt(20)
	v_lshrrev_b32_e32 v0, 16, v19
	v_mul_f16_sdwa v1, v14, v0 dst_sel:DWORD dst_unused:UNUSED_PAD src0_sel:WORD_1 src1_sel:DWORD
	v_mul_f16_sdwa v2, v14, v19 dst_sel:DWORD dst_unused:UNUSED_PAD src0_sel:WORD_1 src1_sel:DWORD
	v_fma_f16 v1, v14, v19, v1
	v_fma_f16 v0, v14, v0, -v2
	v_pack_b32_f16 v0, v1, v0
	v_add_u32_e32 v1, 0x400, v41
	ds_write2_b32 v1, v4, v0 offset0:136 offset1:234
	s_waitcnt vmcnt(19)
	v_lshrrev_b32_e32 v0, 16, v20
	v_mul_f16_sdwa v1, v15, v0 dst_sel:DWORD dst_unused:UNUSED_PAD src0_sel:WORD_1 src1_sel:DWORD
	v_mul_f16_sdwa v2, v15, v20 dst_sel:DWORD dst_unused:UNUSED_PAD src0_sel:WORD_1 src1_sel:DWORD
	v_fma_f16 v1, v15, v20, v1
	v_fma_f16 v0, v15, v0, -v2
	v_pack_b32_f16 v0, v1, v0
	s_waitcnt vmcnt(18)
	v_lshrrev_b32_e32 v1, 16, v6
	v_mul_f16_sdwa v2, v17, v1 dst_sel:DWORD dst_unused:UNUSED_PAD src0_sel:WORD_1 src1_sel:DWORD
	v_mul_f16_sdwa v3, v17, v6 dst_sel:DWORD dst_unused:UNUSED_PAD src0_sel:WORD_1 src1_sel:DWORD
	v_fma_f16 v2, v17, v6, v2
	v_fma_f16 v1, v17, v1, -v3
	v_pack_b32_f16 v1, v2, v1
	v_add_u32_e32 v2, 0x800, v41
	ds_write2_b32 v2, v0, v1 offset0:76 offset1:174
	s_waitcnt vmcnt(17)
	v_lshrrev_b32_e32 v0, 16, v7
	s_waitcnt vmcnt(16)
	v_mul_f16_sdwa v1, v8, v0 dst_sel:DWORD dst_unused:UNUSED_PAD src0_sel:WORD_1 src1_sel:DWORD
	v_mul_f16_sdwa v2, v8, v7 dst_sel:DWORD dst_unused:UNUSED_PAD src0_sel:WORD_1 src1_sel:DWORD
	v_fma_f16 v1, v8, v7, v1
	v_fma_f16 v0, v8, v0, -v2
	v_pack_b32_f16 v0, v1, v0
	s_waitcnt vmcnt(15)
	v_lshrrev_b32_e32 v1, 16, v9
	s_waitcnt vmcnt(14)
	v_mul_f16_sdwa v2, v10, v1 dst_sel:DWORD dst_unused:UNUSED_PAD src0_sel:WORD_1 src1_sel:DWORD
	v_mul_f16_sdwa v3, v10, v9 dst_sel:DWORD dst_unused:UNUSED_PAD src0_sel:WORD_1 src1_sel:DWORD
	v_fma_f16 v2, v10, v9, v2
	v_fma_f16 v1, v10, v1, -v3
	v_pack_b32_f16 v1, v2, v1
	v_add_u32_e32 v2, 0xc00, v41
	ds_write2_b32 v2, v0, v1 offset0:16 offset1:114
	s_waitcnt vmcnt(13)
	v_lshrrev_b32_e32 v0, 16, v11
	s_waitcnt vmcnt(12)
	v_mul_f16_sdwa v1, v13, v0 dst_sel:DWORD dst_unused:UNUSED_PAD src0_sel:WORD_1 src1_sel:DWORD
	v_mul_f16_sdwa v2, v13, v11 dst_sel:DWORD dst_unused:UNUSED_PAD src0_sel:WORD_1 src1_sel:DWORD
	v_fma_f16 v1, v13, v11, v1
	v_fma_f16 v0, v13, v0, -v2
	v_pack_b32_f16 v0, v1, v0
	s_waitcnt vmcnt(11)
	v_lshrrev_b32_e32 v1, 16, v21
	s_waitcnt vmcnt(10)
	;; [unrolled: 18-line block ×4, first 2 shown]
	v_mul_f16_sdwa v2, v28, v1 dst_sel:DWORD dst_unused:UNUSED_PAD src0_sel:WORD_1 src1_sel:DWORD
	v_mul_f16_sdwa v3, v28, v27 dst_sel:DWORD dst_unused:UNUSED_PAD src0_sel:WORD_1 src1_sel:DWORD
	v_fma_f16 v2, v28, v27, v2
	v_fma_f16 v1, v28, v1, -v3
	v_pack_b32_f16 v1, v2, v1
	v_add_u32_e32 v2, 0x1400, v41
	ds_write2_b32 v2, v0, v1 offset0:92 offset1:190
	s_waitcnt vmcnt(1)
	v_lshrrev_b32_e32 v0, 16, v5
	s_waitcnt vmcnt(0)
	v_mul_f16_sdwa v1, v29, v0 dst_sel:DWORD dst_unused:UNUSED_PAD src0_sel:WORD_1 src1_sel:DWORD
	v_mul_f16_sdwa v2, v29, v5 dst_sel:DWORD dst_unused:UNUSED_PAD src0_sel:WORD_1 src1_sel:DWORD
	v_fma_f16 v1, v29, v5, v1
	v_fma_f16 v0, v29, v0, -v2
	v_pack_b32_f16 v0, v1, v0
	ds_write_b32 v41, v0 offset:6272
.LBB0_3:
	s_or_b64 exec, exec, s[8:9]
	s_load_dwordx2 s[8:9], s[4:5], 0x20
	s_load_dwordx2 s[2:3], s[4:5], 0x8
	v_mov_b32_e32 v0, 0
	s_waitcnt lgkmcnt(0)
	s_barrier
	s_waitcnt lgkmcnt(0)
                                        ; implicit-def: $vgpr19
                                        ; implicit-def: $vgpr11
                                        ; implicit-def: $vgpr9
                                        ; implicit-def: $vgpr7
                                        ; implicit-def: $vgpr5
                                        ; implicit-def: $vgpr3
                                        ; implicit-def: $vgpr13
                                        ; implicit-def: $vgpr15
                                        ; implicit-def: $vgpr36
	s_and_saveexec_b64 s[4:5], s[0:1]
	s_cbranch_execz .LBB0_5
; %bb.4:
	v_add_u32_e32 v2, 0x200, v41
	ds_read2_b32 v[14:15], v2 offset0:68 offset1:166
	v_add_u32_e32 v2, 0x400, v41
	ds_read2_b32 v[12:13], v2 offset0:136 offset1:234
	v_add_u32_e32 v2, 0x800, v41
	v_add_u32_e32 v4, 0xc00, v41
	;; [unrolled: 1-line block ×5, first 2 shown]
	ds_read2_b32 v[0:1], v41 offset1:98
	ds_read2_b32 v[2:3], v2 offset0:76 offset1:174
	ds_read2_b32 v[4:5], v4 offset0:16 offset1:114
	;; [unrolled: 1-line block ×5, first 2 shown]
	ds_read_b32 v19, v41 offset:6272
	s_waitcnt lgkmcnt(8)
	v_alignbit_b32 v36, v14, v14, 16
.LBB0_5:
	s_or_b64 exec, exec, s[4:5]
	s_waitcnt lgkmcnt(0)
	v_pk_add_f16 v14, v1, v19 neg_lo:[0,1] neg_hi:[0,1]
	s_mov_b32 s25, 0xbb29
	v_pk_add_f16 v20, v19, v1
	s_movk_i32 s14, 0x3722
	v_mul_f16_sdwa v39, v14, s25 dst_sel:DWORD dst_unused:UNUSED_PAD src0_sel:WORD_1 src1_sel:DWORD
	v_lshrrev_b32_e32 v56, 16, v20
	v_mul_f16_e32 v58, 0xbb29, v14
	v_fma_f16 v21, v20, s14, v39
	s_mov_b32 s27, 0xb5c8
	v_add_f16_e32 v22, v21, v0
	v_fma_f16 v21, v56, s14, -v58
	s_movk_i32 s10, 0x3b76
	v_mul_f16_sdwa v26, v14, s27 dst_sel:DWORD dst_unused:UNUSED_PAD src0_sel:WORD_1 src1_sel:DWORD
	s_mov_b32 s30, 0xb964
	v_add_f16_sdwa v24, v21, v0 dst_sel:DWORD dst_unused:UNUSED_PAD src0_sel:DWORD src1_sel:WORD_1
	v_pk_add_f16 v21, v11, v36 op_sel:[1,0] op_sel_hi:[0,1]
	v_pk_add_f16 v23, v36, v11 op_sel:[1,0] op_sel_hi:[0,1] neg_lo:[0,1] neg_hi:[0,1]
	v_fma_f16 v17, v20, s10, v26
	s_movk_i32 s11, 0x39e9
	v_mul_f16_e32 v31, 0xb964, v14
	v_lshrrev_b32_e32 v57, 16, v21
	v_mul_f16_sdwa v29, v23, s30 dst_sel:DWORD dst_unused:UNUSED_PAD src0_sel:WORD_1 src1_sel:DWORD
	v_add_f16_e32 v17, v17, v0
	v_fma_f16 v18, v56, s11, -v31
	v_fma_f16 v25, v57, s11, v29
	s_movk_i32 s16, 0x2de8
	v_mul_f16_e32 v35, 0xbbf7, v23
	s_mov_b32 s15, 0xba62
	v_add_f16_sdwa v18, v18, v0 dst_sel:DWORD dst_unused:UNUSED_PAD src0_sel:DWORD src1_sel:WORD_1
	v_add_f16_e32 v17, v25, v17
	v_fma_f16 v25, v21, s16, -v35
	s_mov_b32 s17, 0xb8d2
	v_mul_f16_sdwa v50, v23, s15 dst_sel:DWORD dst_unused:UNUSED_PAD src0_sel:WORD_1 src1_sel:DWORD
	v_add_f16_e32 v18, v25, v18
	v_mul_f16_e32 v63, 0xba62, v23
	v_fma_f16 v25, v57, s17, v50
	v_add_f16_e32 v25, v25, v22
	v_fma_f16 v22, v21, s17, -v63
	v_add_f16_e32 v27, v22, v24
	v_pk_add_f16 v22, v15, v10 neg_lo:[0,1] neg_hi:[0,1]
	v_pk_add_f16 v24, v10, v15
	v_mul_f16_sdwa v33, v22, s25 dst_sel:DWORD dst_unused:UNUSED_PAD src0_sel:WORD_1 src1_sel:DWORD
	v_fma_f16 v28, v24, s14, v33
	v_lshrrev_b32_e32 v62, 16, v24
	v_mul_f16_e32 v42, 0xba62, v22
	s_movk_i32 s34, 0x31e1
	v_add_f16_e32 v17, v28, v17
	v_fma_f16 v28, v62, s17, -v42
	s_mov_b32 s18, 0xbbdd
	v_mul_f16_sdwa v54, v22, s34 dst_sel:DWORD dst_unused:UNUSED_PAD src0_sel:WORD_1 src1_sel:DWORD
	v_add_f16_e32 v18, v28, v18
	v_fma_f16 v28, v24, s18, v54
	v_mul_f16_e32 v68, 0x31e1, v22
	v_add_f16_e32 v28, v28, v25
	v_fma_f16 v25, v62, s18, -v68
	v_add_f16_e32 v30, v25, v27
	s_mov_b32 s31, 0xbbf7
	v_pk_add_f16 v25, v12, v9 neg_lo:[0,1] neg_hi:[0,1]
	v_pk_add_f16 v27, v9, v12
	v_mul_f16_sdwa v38, v25, s31 dst_sel:DWORD dst_unused:UNUSED_PAD src0_sel:WORD_1 src1_sel:DWORD
	v_fma_f16 v32, v27, s16, v38
	v_lshrrev_b32_e32 v65, 16, v27
	v_mul_f16_e32 v53, 0xb1e1, v25
	s_movk_i32 s33, 0x3bb2
	v_add_f16_e32 v17, v32, v17
	v_fma_f16 v32, v65, s18, -v53
	s_mov_b32 s20, 0xb461
	v_mul_f16_sdwa v59, v25, s33 dst_sel:DWORD dst_unused:UNUSED_PAD src0_sel:WORD_1 src1_sel:DWORD
	v_add_f16_e32 v18, v32, v18
	v_fma_f16 v32, v27, s20, v59
	v_mul_f16_e32 v72, 0x3bb2, v25
	v_add_f16_e32 v32, v32, v28
	v_fma_f16 v28, v65, s20, -v72
	v_add_f16_e32 v34, v28, v30
	s_mov_b32 s19, 0xbbb2
	v_pk_add_f16 v28, v13, v8 neg_lo:[0,1] neg_hi:[0,1]
	v_pk_add_f16 v30, v8, v13
	v_mul_f16_sdwa v51, v28, s19 dst_sel:DWORD dst_unused:UNUSED_PAD src0_sel:WORD_1 src1_sel:DWORD
	v_fma_f16 v37, v30, s20, v51
	s_mov_b32 s22, 0xbacd
	v_lshrrev_b32_e32 v69, 16, v30
	v_mul_f16_e32 v60, 0x3836, v28
	s_movk_i32 s21, 0x3964
	v_add_f16_e32 v17, v37, v17
	v_fma_f16 v37, v69, s22, -v60
	v_mul_f16_sdwa v66, v28, s21 dst_sel:DWORD dst_unused:UNUSED_PAD src0_sel:WORD_1 src1_sel:DWORD
	v_add_f16_e32 v18, v37, v18
	v_fma_f16 v37, v30, s11, v66
	v_mul_f16_e32 v75, 0x3964, v28
	v_add_f16_e32 v37, v37, v32
	v_fma_f16 v32, v69, s11, -v75
	v_add_f16_e32 v40, v32, v34
	v_pk_add_f16 v32, v2, v7 neg_lo:[0,1] neg_hi:[0,1]
	v_pk_add_f16 v34, v7, v2
	v_mul_f16_sdwa v55, v32, s15 dst_sel:DWORD dst_unused:UNUSED_PAD src0_sel:WORD_1 src1_sel:DWORD
	v_fma_f16 v44, v34, s17, v55
	v_lshrrev_b32_e32 v73, 16, v34
	v_mul_f16_e32 v64, 0x3bb2, v32
	v_add_f16_e32 v17, v44, v17
	v_fma_f16 v44, v73, s20, -v64
	v_mul_f16_sdwa v70, v32, s27 dst_sel:DWORD dst_unused:UNUSED_PAD src0_sel:WORD_1 src1_sel:DWORD
	v_add_f16_e32 v18, v44, v18
	v_fma_f16 v44, v34, s10, v70
	v_mul_f16_e32 v79, 0xb5c8, v32
	v_add_f16_e32 v44, v44, v37
	v_fma_f16 v37, v73, s10, -v79
	v_add_f16_e32 v45, v37, v40
	s_mov_b32 s23, 0xb836
	v_pk_add_f16 v37, v3, v6 neg_lo:[0,1] neg_hi:[0,1]
	v_pk_add_f16 v40, v6, v3
	v_mul_f16_sdwa v61, v37, s23 dst_sel:DWORD dst_unused:UNUSED_PAD src0_sel:WORD_1 src1_sel:DWORD
	v_fma_f16 v46, v40, s22, v61
	v_lshrrev_b32_e32 v76, 16, v40
	v_mul_f16_e32 v71, 0x3b29, v37
	v_add_f16_e32 v17, v46, v17
	v_fma_f16 v46, v76, s14, -v71
	v_mul_f16_sdwa v74, v37, s31 dst_sel:DWORD dst_unused:UNUSED_PAD src0_sel:WORD_1 src1_sel:DWORD
	v_add_f16_e32 v47, v46, v18
	v_fma_f16 v18, v40, s16, v74
	v_mul_f16_e32 v85, 0xbbf7, v37
	v_add_f16_e32 v18, v18, v44
	v_fma_f16 v44, v76, s16, -v85
	v_add_f16_e32 v45, v44, v45
	s_mov_b32 s24, 0xb1e1
	v_pk_add_f16 v44, v4, v5 neg_lo:[0,1] neg_hi:[0,1]
	s_mov_b32 s4, 0x3b7639e9
	v_pk_add_f16 v52, v5, v4
	v_mul_f16_sdwa v67, v44, s24 dst_sel:DWORD dst_unused:UNUSED_PAD src0_sel:WORD_1 src1_sel:DWORD
	s_mov_b32 s5, 0xb964b5c8
	s_mov_b32 s28, 0xbbf7b964
	v_pk_mul_f16 v49, v20, s4
	v_fma_f16 v46, v52, s18, v67
	s_mov_b32 s26, 0x2de839e9
	s_mov_b32 s29, 0x3722b8d2
	v_pk_fma_f16 v77, v14, s5, v49 op_sel:[0,0,1] op_sel_hi:[1,1,0]
	v_pk_mul_f16 v86, v23, s28
	v_add_f16_e32 v46, v46, v17
	s_mov_b32 s35, 0xba62bb29
	s_mov_b32 s36, 0x2de8bbdd
	v_pk_fma_f16 v78, v21, s26, v86
	v_add_f16_sdwa v17, v77, v0 dst_sel:DWORD dst_unused:UNUSED_PAD src0_sel:WORD_1 src1_sel:DWORD
	v_pk_mul_f16 v91, v24, s29
	s_mov_b32 s37, 0xb1e1bbf7
	s_mov_b32 s38, 0xb461bacd
	v_add_f16_sdwa v17, v78, v17 dst_sel:DWORD dst_unused:UNUSED_PAD src0_sel:WORD_1 src1_sel:DWORD
	v_pk_fma_f16 v80, v22, s35, v91 op_sel:[0,0,1] op_sel_hi:[1,1,0]
	v_pk_mul_f16 v92, v27, s36
	s_mov_b32 s39, 0x3836bbb2
	s_mov_b32 s40, 0xb8d2b461
	v_add_f16_sdwa v17, v80, v17 dst_sel:DWORD dst_unused:UNUSED_PAD src0_sel:WORD_1 src1_sel:DWORD
	v_pk_fma_f16 v81, v25, s37, v92 op_sel:[0,0,1] op_sel_hi:[1,1,0]
	;; [unrolled: 5-line block ×4, first 2 shown]
	v_pk_mul_f16 v95, v40, s42
	s_mov_b32 s45, 0x35c8b1e1
	v_add_f16_sdwa v17, v83, v17 dst_sel:DWORD dst_unused:UNUSED_PAD src0_sel:WORD_1 src1_sel:DWORD
	v_pk_fma_f16 v84, v37, s43, v95 op_sel:[0,0,1] op_sel_hi:[1,1,0]
	v_mul_f16_sdwa v97, v44, s23 dst_sel:DWORD dst_unused:UNUSED_PAD src0_sel:WORD_1 src1_sel:DWORD
	v_pk_mul_f16 v96, v52, s44
	v_add_f16_sdwa v48, v84, v17 dst_sel:DWORD dst_unused:UNUSED_PAD src0_sel:WORD_1 src1_sel:DWORD
	v_fma_f16 v17, v52, s22, v97
	v_pk_fma_f16 v87, v44, s45, v96 op_sel:[0,0,1] op_sel_hi:[1,1,0]
	v_lshrrev_b32_e32 v98, 16, v52
	v_mul_f16_e32 v88, 0x35c8, v44
	v_add_f16_e32 v17, v17, v18
	v_add_f16_sdwa v18, v87, v48 dst_sel:DWORD dst_unused:UNUSED_PAD src0_sel:WORD_1 src1_sel:DWORD
	v_fma_f16 v48, v98, s10, -v88
	v_mul_f16_e32 v99, 0xb836, v44
	v_add_f16_e32 v47, v48, v47
	v_fma_f16 v48, v98, s22, -v99
	v_pk_fma_f16 v89, v14, s5, v49 op_sel:[0,0,1] op_sel_hi:[1,1,0] neg_lo:[1,0,0] neg_hi:[1,0,0]
	v_add_f16_e32 v48, v48, v45
	v_pk_fma_f16 v90, v21, s26, v86 neg_lo:[0,0,1] neg_hi:[0,0,1]
	v_add_f16_sdwa v45, v89, v0 dst_sel:DWORD dst_unused:UNUSED_PAD src0_sel:DWORD src1_sel:WORD_1
	v_pk_fma_f16 v91, v22, s35, v91 op_sel:[0,0,1] op_sel_hi:[1,1,0] neg_lo:[1,0,0] neg_hi:[1,0,0]
	v_add_f16_e32 v45, v90, v45
	v_pk_fma_f16 v92, v25, s37, v92 op_sel:[0,0,1] op_sel_hi:[1,1,0] neg_lo:[1,0,0] neg_hi:[1,0,0]
	v_add_f16_e32 v45, v91, v45
	;; [unrolled: 2-line block ×6, first 2 shown]
	s_movk_i32 s35, 0x3836
	s_movk_i32 s26, 0x3b29
	v_add_f16_e32 v49, v96, v45
	s_movk_i32 s28, 0x35c8
	v_mul_lo_u16_e32 v45, 17, v43
	s_barrier
	s_and_saveexec_b64 s[4:5], s[0:1]
	s_cbranch_execz .LBB0_7
; %bb.6:
	v_mul_f16_e32 v100, 0x2de8, v56
	s_movk_i32 s29, 0x3bf7
	v_fma_f16 v86, v14, s29, v100
	v_mul_f16_e32 v101, 0xbbdd, v21
	v_add_f16_sdwa v86, v86, v0 dst_sel:DWORD dst_unused:UNUSED_PAD src0_sel:DWORD src1_sel:WORD_1
	v_fma_f16 v102, v23, s34, v101
	v_add_f16_e32 v86, v102, v86
	v_mul_f16_e32 v102, 0xb461, v62
	v_fma_f16 v103, v22, s19, v102
	v_add_f16_e32 v86, v103, v86
	v_mul_f16_e32 v103, 0x3b76, v65
	;; [unrolled: 3-line block ×6, first 2 shown]
	v_fma_f16 v108, v44, s30, v107
	v_add_f16_e32 v86, v108, v86
	v_mul_f16_sdwa v108, v14, s31 dst_sel:DWORD dst_unused:UNUSED_PAD src0_sel:WORD_1 src1_sel:DWORD
	v_fma_f16 v109, v20, s16, v108
	v_mul_f16_sdwa v110, v23, s24 dst_sel:DWORD dst_unused:UNUSED_PAD src0_sel:WORD_1 src1_sel:DWORD
	v_add_f16_e32 v109, v109, v0
	v_fma_f16 v111, v57, s18, v110
	v_add_f16_e32 v109, v111, v109
	v_mul_f16_sdwa v111, v22, s33 dst_sel:DWORD dst_unused:UNUSED_PAD src0_sel:WORD_1 src1_sel:DWORD
	v_fma_f16 v112, v24, s20, v111
	v_add_f16_e32 v109, v112, v109
	v_mul_f16_sdwa v112, v25, s28 dst_sel:DWORD dst_unused:UNUSED_PAD src0_sel:WORD_1 src1_sel:DWORD
	;; [unrolled: 3-line block ×4, first 2 shown]
	v_fma_f16 v115, v34, s22, v114
	s_movk_i32 s36, 0x3a62
	v_add_f16_e32 v109, v115, v109
	v_mul_f16_sdwa v115, v37, s36 dst_sel:DWORD dst_unused:UNUSED_PAD src0_sel:WORD_1 src1_sel:DWORD
	v_fma_f16 v116, v40, s17, v115
	v_add_f16_e32 v109, v116, v109
	v_mul_f16_sdwa v116, v44, s21 dst_sel:DWORD dst_unused:UNUSED_PAD src0_sel:WORD_1 src1_sel:DWORD
	v_fma_f16 v117, v52, s11, v116
	v_add_f16_e32 v109, v117, v109
	v_mul_f16_e32 v117, 0xb461, v56
	v_fma_f16 v118, v14, s33, v117
	v_mul_f16_e32 v119, 0xbacd, v21
	v_add_f16_sdwa v118, v118, v0 dst_sel:DWORD dst_unused:UNUSED_PAD src0_sel:DWORD src1_sel:WORD_1
	v_fma_f16 v120, v23, s23, v119
	v_add_f16_e32 v118, v120, v118
	v_mul_f16_e32 v120, 0x39e9, v62
	v_fma_f16 v121, v22, s30, v120
	v_add_f16_e32 v118, v121, v118
	v_mul_f16_e32 v121, 0x3722, v65
	;; [unrolled: 3-line block ×6, first 2 shown]
	v_fma_f16 v126, v44, s36, v125
	v_add_f16_e32 v118, v126, v118
	v_mul_f16_sdwa v126, v14, s19 dst_sel:DWORD dst_unused:UNUSED_PAD src0_sel:WORD_1 src1_sel:DWORD
	v_fma_f16 v127, v20, s20, v126
	v_mul_f16_sdwa v128, v23, s35 dst_sel:DWORD dst_unused:UNUSED_PAD src0_sel:WORD_1 src1_sel:DWORD
	v_add_f16_e32 v127, v127, v0
	v_fma_f16 v129, v57, s22, v128
	v_add_f16_e32 v127, v129, v127
	v_mul_f16_sdwa v129, v22, s21 dst_sel:DWORD dst_unused:UNUSED_PAD src0_sel:WORD_1 src1_sel:DWORD
	v_fma_f16 v130, v24, s11, v129
	v_add_f16_e32 v127, v130, v127
	v_mul_f16_sdwa v130, v25, s25 dst_sel:DWORD dst_unused:UNUSED_PAD src0_sel:WORD_1 src1_sel:DWORD
	;; [unrolled: 3-line block ×6, first 2 shown]
	v_fma_f16 v135, v52, s17, v134
	v_add_f16_e32 v127, v135, v127
	v_mul_f16_e32 v135, 0xb8d2, v56
	v_fma_f16 v136, v14, s36, v135
	v_mul_f16_e32 v137, 0xb461, v21
	v_add_f16_sdwa v136, v136, v0 dst_sel:DWORD dst_unused:UNUSED_PAD src0_sel:DWORD src1_sel:WORD_1
	v_fma_f16 v138, v23, s19, v137
	v_add_f16_e32 v136, v138, v136
	v_mul_f16_e32 v138, 0x3b76, v62
	v_fma_f16 v139, v22, s28, v138
	v_add_f16_e32 v136, v139, v136
	v_mul_f16_e32 v139, 0xbacd, v65
	;; [unrolled: 3-line block ×6, first 2 shown]
	v_fma_f16 v144, v44, s25, v143
	v_add_f16_e32 v136, v144, v136
	v_mul_f16_sdwa v144, v14, s15 dst_sel:DWORD dst_unused:UNUSED_PAD src0_sel:WORD_1 src1_sel:DWORD
	v_fma_f16 v145, v20, s17, v144
	v_mul_f16_sdwa v146, v23, s33 dst_sel:DWORD dst_unused:UNUSED_PAD src0_sel:WORD_1 src1_sel:DWORD
	v_add_f16_e32 v145, v145, v0
	v_fma_f16 v147, v57, s20, v146
	v_fma_f16 v100, v14, s31, v100
	v_add_f16_e32 v145, v147, v145
	v_mul_f16_sdwa v147, v22, s27 dst_sel:DWORD dst_unused:UNUSED_PAD src0_sel:WORD_1 src1_sel:DWORD
	v_add_f16_sdwa v100, v100, v0 dst_sel:DWORD dst_unused:UNUSED_PAD src0_sel:DWORD src1_sel:WORD_1
	v_fma_f16 v101, v23, s24, v101
	v_fma_f16 v148, v24, s10, v147
	v_add_f16_e32 v100, v101, v100
	v_fma_f16 v101, v22, s33, v102
	v_add_f16_e32 v145, v148, v145
	v_mul_f16_sdwa v148, v25, s23 dst_sel:DWORD dst_unused:UNUSED_PAD src0_sel:WORD_1 src1_sel:DWORD
	v_add_f16_e32 v100, v101, v100
	v_fma_f16 v101, v25, s28, v103
	v_fma_f16 v149, v27, s22, v148
	v_add_f16_e32 v100, v101, v100
	v_fma_f16 v101, v28, s25, v104
	v_add_f16_e32 v145, v149, v145
	v_mul_f16_sdwa v149, v28, s29 dst_sel:DWORD dst_unused:UNUSED_PAD src0_sel:WORD_1 src1_sel:DWORD
	v_add_f16_e32 v100, v101, v100
	;; [unrolled: 7-line block ×3, first 2 shown]
	v_fma_f16 v101, v44, s21, v107
	v_fma_f16 v151, v34, s11, v150
	v_add_f16_e32 v100, v101, v100
	v_fma_f16 v101, v20, s16, -v108
	v_add_f16_e32 v145, v151, v145
	v_mul_f16_sdwa v151, v37, s24 dst_sel:DWORD dst_unused:UNUSED_PAD src0_sel:WORD_1 src1_sel:DWORD
	v_add_f16_e32 v101, v101, v0
	v_fma_f16 v102, v57, s18, -v110
	v_fma_f16 v152, v40, s18, v151
	v_add_f16_e32 v101, v102, v101
	v_fma_f16 v102, v24, s20, -v111
	v_add_f16_e32 v145, v152, v145
	v_mul_f16_sdwa v152, v44, s26 dst_sel:DWORD dst_unused:UNUSED_PAD src0_sel:WORD_1 src1_sel:DWORD
	v_add_f16_e32 v101, v102, v101
	v_fma_f16 v102, v27, s10, -v112
	v_fma_f16 v153, v52, s14, v152
	v_add_f16_e32 v101, v102, v101
	v_fma_f16 v102, v30, s14, -v113
	v_add_f16_e32 v145, v153, v145
	v_mul_f16_e32 v153, 0xbacd, v56
	v_add_f16_e32 v101, v102, v101
	v_fma_f16 v103, v34, s22, -v114
	v_fma_f16 v154, v14, s35, v153
	v_mul_f16_e32 v155, 0x3722, v21
	v_add_f16_e32 v101, v103, v101
	v_fma_f16 v104, v40, s17, -v115
	v_add_f16_sdwa v154, v154, v0 dst_sel:DWORD dst_unused:UNUSED_PAD src0_sel:DWORD src1_sel:WORD_1
	v_fma_f16 v156, v23, s25, v155
	v_add_f16_e32 v101, v104, v101
	v_mul_f16_e32 v104, 0x39e9, v56
	v_mul_f16_e32 v56, 0x3722, v56
	v_add_f16_e32 v154, v156, v154
	v_mul_f16_e32 v156, 0x2de8, v62
	v_add_f16_e32 v56, v58, v56
	v_mul_f16_e32 v58, 0xb8d2, v21
	v_fma_f16 v157, v22, s29, v156
	v_add_f16_e32 v58, v63, v58
	v_add_f16_sdwa v56, v56, v0 dst_sel:DWORD dst_unused:UNUSED_PAD src0_sel:DWORD src1_sel:WORD_1
	v_add_f16_e32 v154, v157, v154
	v_mul_f16_e32 v157, 0xb8d2, v65
	v_add_f16_e32 v56, v58, v56
	v_mul_f16_e32 v58, 0xbbdd, v62
	v_fma_f16 v158, v25, s15, v157
	v_add_f16_e32 v58, v68, v58
	v_add_f16_e32 v154, v158, v154
	v_mul_f16_e32 v158, 0x3b76, v69
	v_add_f16_e32 v56, v58, v56
	v_mul_f16_e32 v58, 0xb461, v65
	v_fma_f16 v159, v28, s28, v158
	v_add_f16_e32 v58, v72, v58
	;; [unrolled: 6-line block ×3, first 2 shown]
	v_add_f16_e32 v154, v160, v154
	v_mul_f16_e32 v160, 0x39e9, v76
	v_fma_f16 v153, v14, s23, v153
	v_fma_f16 v135, v14, s15, v135
	;; [unrolled: 1-line block ×3, first 2 shown]
	v_mul_f16_e32 v68, 0x2de8, v21
	v_add_f16_e32 v56, v58, v56
	v_mul_f16_e32 v58, 0x3b76, v73
	v_add_f16_e32 v31, v31, v104
	v_fma_f16 v161, v37, s30, v160
	v_add_f16_sdwa v153, v153, v0 dst_sel:DWORD dst_unused:UNUSED_PAD src0_sel:DWORD src1_sel:WORD_1
	v_fma_f16 v155, v23, s26, v155
	v_add_f16_sdwa v135, v135, v0 dst_sel:DWORD dst_unused:UNUSED_PAD src0_sel:DWORD src1_sel:WORD_1
	;; [unrolled: 2-line block ×3, first 2 shown]
	v_fma_f16 v119, v23, s35, v119
	v_fma_f16 v105, v52, s11, -v116
	v_mul_f16_e32 v62, 0xb8d2, v62
	v_add_f16_e32 v58, v79, v58
	v_add_f16_sdwa v31, v31, v0 dst_sel:DWORD dst_unused:UNUSED_PAD src0_sel:DWORD src1_sel:WORD_1
	v_add_f16_e32 v35, v35, v68
	v_add_f16_e32 v154, v161, v154
	v_mul_f16_e32 v161, 0xb461, v98
	v_mul_f16_sdwa v164, v23, s26 dst_sel:DWORD dst_unused:UNUSED_PAD src0_sel:WORD_1 src1_sel:DWORD
	v_add_f16_e32 v153, v155, v153
	v_fma_f16 v155, v22, s31, v156
	v_add_f16_e32 v135, v137, v135
	v_fma_f16 v137, v22, s27, v138
	;; [unrolled: 2-line block ×3, first 2 shown]
	v_add_f16_e32 v101, v105, v101
	v_mul_f16_e32 v105, 0x3722, v20
	v_mul_f16_e32 v65, 0xbbdd, v65
	v_add_f16_e32 v56, v58, v56
	v_mul_f16_e32 v58, 0x2de8, v76
	v_add_f16_e32 v31, v35, v31
	v_add_f16_e32 v35, v42, v62
	v_fma_f16 v162, v44, s33, v161
	v_fma_f16 v165, v57, s14, v164
	v_add_f16_e32 v153, v155, v153
	v_fma_f16 v155, v25, s36, v157
	v_fma_f16 v156, v57, s14, -v164
	v_add_f16_e32 v135, v137, v135
	v_fma_f16 v137, v25, s23, v139
	v_fma_f16 v138, v57, s20, -v146
	;; [unrolled: 3-line block ×3, first 2 shown]
	v_alignbit_b32 v102, v0, v0, 16
	v_mul_f16_e32 v63, 0x39e9, v57
	v_mul_f16_e32 v57, 0xb8d2, v57
	v_add_f16_e32 v58, v85, v58
	v_mul_f16_e32 v69, 0xbacd, v69
	v_sub_f16_e32 v39, v105, v39
	v_add_f16_e32 v31, v35, v31
	v_add_f16_e32 v35, v53, v65
	;; [unrolled: 1-line block ×3, first 2 shown]
	v_mul_f16_sdwa v162, v14, s23 dst_sel:DWORD dst_unused:UNUSED_PAD src0_sel:WORD_1 src1_sel:DWORD
	v_add_f16_e32 v153, v155, v153
	v_fma_f16 v155, v28, s27, v158
	v_add_f16_e32 v135, v137, v135
	v_fma_f16 v137, v28, s29, v140
	;; [unrolled: 2-line block ×3, first 2 shown]
	v_alignbit_b32 v36, v36, v36, 16
	v_mul_f16_e32 v75, 0xbbdd, v24
	v_add_f16_e32 v56, v58, v56
	v_mul_f16_e32 v58, 0xbacd, v98
	v_mul_f16_e32 v73, 0xb461, v73
	v_sub_f16_e32 v50, v57, v50
	v_add_f16_e32 v39, v39, v0
	v_add_f16_e32 v31, v35, v31
	;; [unrolled: 1-line block ×3, first 2 shown]
	v_pk_add_f16 v1, v1, v102 op_sel:[0,1] op_sel_hi:[1,0]
	v_fma_f16 v163, v20, s22, v162
	v_add_f16_e32 v153, v155, v153
	v_fma_f16 v155, v32, s24, v159
	v_add_f16_e32 v135, v137, v135
	;; [unrolled: 2-line block ×3, first 2 shown]
	v_fma_f16 v119, v32, s29, v123
	v_mul_f16_e32 v85, 0xb461, v27
	v_add_f16_e32 v58, v99, v58
	v_add_f16_e32 v39, v50, v39
	v_mul_f16_e32 v76, 0x3722, v76
	v_sub_f16_e32 v54, v75, v54
	v_add_f16_e32 v31, v35, v31
	v_add_f16_e32 v35, v64, v73
	v_pk_add_f16 v1, v36, v1
	v_add_f16_e32 v163, v163, v0
	v_add_f16_e32 v153, v155, v153
	v_fma_f16 v155, v37, s21, v160
	v_add_f16_e32 v135, v137, v135
	v_fma_f16 v137, v37, s24, v142
	;; [unrolled: 2-line block ×3, first 2 shown]
	v_add_f16_e32 v56, v58, v56
	v_mul_f16_e32 v58, 0x39e9, v30
	v_add_f16_e32 v39, v54, v39
	v_mul_f16_e32 v98, 0x3b76, v98
	v_sub_f16_e32 v59, v85, v59
	v_add_f16_e32 v31, v35, v31
	v_add_f16_e32 v35, v71, v76
	v_pk_add_f16 v1, v15, v1
	v_add_f16_e32 v163, v165, v163
	v_mul_f16_sdwa v165, v22, s31 dst_sel:DWORD dst_unused:UNUSED_PAD src0_sel:WORD_1 src1_sel:DWORD
	v_add_f16_e32 v153, v155, v153
	v_fma_f16 v155, v44, s19, v161
	v_add_f16_e32 v135, v137, v135
	v_fma_f16 v137, v44, s26, v143
	;; [unrolled: 2-line block ×3, first 2 shown]
	v_mul_f16_e32 v103, 0x3b76, v20
	v_mul_f16_e32 v57, 0x3b76, v34
	v_add_f16_e32 v39, v59, v39
	v_sub_f16_e32 v58, v58, v66
	v_add_f16_e32 v31, v35, v31
	v_add_f16_e32 v35, v88, v98
	s_mov_b32 s25, 0xffff
	v_pk_add_f16 v1, v12, v1
	v_fma_f16 v166, v24, s16, v165
	v_add_f16_e32 v153, v155, v153
	v_fma_f16 v155, v20, s22, -v162
	v_add_f16_e32 v135, v137, v135
	v_fma_f16 v137, v20, s17, -v144
	;; [unrolled: 2-line block ×3, first 2 shown]
	v_mul_f16_e32 v75, 0x2de8, v40
	v_add_f16_e32 v39, v58, v39
	v_sub_f16_e32 v57, v57, v70
	v_add_f16_e32 v31, v35, v31
	v_bfi_b32 v35, s25, v77, v89
	v_sub_f16_e32 v26, v103, v26
	v_pk_add_f16 v1, v13, v1
	v_add_f16_e32 v163, v166, v163
	v_mul_f16_sdwa v166, v25, s36 dst_sel:DWORD dst_unused:UNUSED_PAD src0_sel:WORD_1 src1_sel:DWORD
	v_add_f16_e32 v155, v155, v0
	v_add_f16_e32 v137, v137, v0
	;; [unrolled: 1-line block ×3, first 2 shown]
	v_mul_f16_e32 v72, 0x3722, v24
	v_mul_f16_e32 v85, 0xbacd, v52
	v_add_f16_e32 v39, v57, v39
	v_sub_f16_e32 v57, v75, v74
	v_bfi_b32 v42, s25, v78, v90
	v_add_f16_e32 v0, v26, v0
	v_sub_f16_e32 v26, v63, v29
	v_pk_add_f16 v1, v2, v1
	v_pk_add_f16 v2, v35, v102
	v_fma_f16 v167, v27, s17, v166
	v_mul_f16_e32 v79, 0x2de8, v27
	v_add_f16_e32 v39, v57, v39
	v_sub_f16_e32 v57, v85, v97
	v_bfi_b32 v53, s25, v80, v91
	v_add_f16_e32 v0, v26, v0
	v_sub_f16_e32 v26, v72, v33
	v_pk_add_f16 v2, v42, v2
	v_add_f16_e32 v163, v167, v163
	v_mul_f16_sdwa v167, v28, s27 dst_sel:DWORD dst_unused:UNUSED_PAD src0_sel:WORD_1 src1_sel:DWORD
	v_mul_f16_e32 v99, 0xb461, v30
	v_add_f16_e32 v39, v57, v39
	v_bfi_b32 v57, s25, v81, v92
	v_add_f16_e32 v0, v26, v0
	v_sub_f16_e32 v26, v79, v38
	v_pk_add_f16 v1, v3, v1
	v_pk_add_f16 v2, v53, v2
	v_fma_f16 v168, v30, s10, v167
	v_add_f16_e32 v137, v138, v137
	v_fma_f16 v138, v24, s10, -v147
	v_add_f16_e32 v119, v120, v119
	v_fma_f16 v120, v24, s11, -v129
	v_mul_f16_e32 v105, 0xb8d2, v34
	v_bfi_b32 v58, s25, v82, v93
	v_add_f16_e32 v0, v26, v0
	v_sub_f16_e32 v26, v99, v51
	v_pk_add_f16 v1, v4, v1
	v_pk_add_f16 v2, v57, v2
	v_add_f16_e32 v163, v168, v163
	v_mul_f16_sdwa v168, v32, s24 dst_sel:DWORD dst_unused:UNUSED_PAD src0_sel:WORD_1 src1_sel:DWORD
	v_add_f16_e32 v155, v156, v155
	v_fma_f16 v156, v24, s16, -v165
	v_add_f16_e32 v137, v138, v137
	v_fma_f16 v138, v27, s22, -v148
	;; [unrolled: 2-line block ×3, first 2 shown]
	v_mul_f16_e32 v50, 0xbacd, v40
	v_bfi_b32 v59, s25, v83, v94
	v_add_f16_e32 v0, v26, v0
	v_sub_f16_e32 v26, v105, v55
	v_pk_add_f16 v1, v5, v1
	v_pk_add_f16 v2, v58, v2
	v_fma_f16 v169, v34, s18, v168
	v_add_f16_e32 v155, v156, v155
	v_fma_f16 v156, v27, s17, -v166
	v_add_f16_e32 v137, v138, v137
	v_fma_f16 v138, v30, s16, -v149
	;; [unrolled: 2-line block ×3, first 2 shown]
	v_mul_f16_e32 v54, 0xbbdd, v52
	v_bfi_b32 v60, s25, v84, v95
	v_add_f16_e32 v0, v26, v0
	v_sub_f16_e32 v26, v50, v61
	v_pk_add_f16 v1, v6, v1
	v_pk_add_f16 v2, v59, v2
	v_add_f16_e32 v163, v169, v163
	v_mul_f16_sdwa v169, v37, s21 dst_sel:DWORD dst_unused:UNUSED_PAD src0_sel:WORD_1 src1_sel:DWORD
	v_add_f16_e32 v155, v156, v155
	v_fma_f16 v156, v30, s10, -v167
	v_add_f16_e32 v137, v138, v137
	v_fma_f16 v138, v34, s11, -v150
	;; [unrolled: 2-line block ×3, first 2 shown]
	v_bfi_b32 v62, s25, v87, v96
	v_add_f16_e32 v0, v26, v0
	v_sub_f16_e32 v26, v54, v67
	v_pk_add_f16 v1, v7, v1
	v_pk_add_f16 v2, v60, v2
	v_fma_f16 v170, v40, s11, v169
	v_add_f16_e32 v155, v156, v155
	v_fma_f16 v156, v34, s18, -v168
	v_add_f16_e32 v137, v138, v137
	v_fma_f16 v138, v40, s18, -v151
	;; [unrolled: 2-line block ×3, first 2 shown]
	v_add_f16_e32 v0, v26, v0
	v_pk_add_f16 v1, v8, v1
	v_pk_add_f16 v2, v62, v2
	v_add_f16_e32 v163, v170, v163
	v_mul_f16_sdwa v170, v44, s19 dst_sel:DWORD dst_unused:UNUSED_PAD src0_sel:WORD_1 src1_sel:DWORD
	v_add_f16_e32 v155, v156, v155
	v_fma_f16 v156, v40, s11, -v169
	v_add_f16_e32 v137, v138, v137
	v_fma_f16 v138, v52, s14, -v152
	;; [unrolled: 2-line block ×3, first 2 shown]
	v_lshlrev_b32_e32 v12, 2, v45
	v_pk_add_f16 v1, v9, v1
	v_alignbit_b32 v3, v31, v2, 16
	v_pack_b32_f16 v0, v0, v2
	v_add_f16_e32 v155, v156, v155
	v_fma_f16 v156, v52, s20, -v170
	v_add_f16_e32 v137, v138, v137
	v_add_f16_e32 v119, v120, v119
	v_pk_add_f16 v1, v10, v1
	ds_write2_b32 v12, v0, v3 offset0:1 offset1:2
	v_pack_b32_f16 v0, v39, v56
	v_pack_b32_f16 v2, v101, v100
	v_add_f16_e32 v155, v156, v155
	v_pk_add_f16 v1, v11, v1
	ds_write2_b32 v12, v0, v2 offset0:3 offset1:4
	v_pack_b32_f16 v0, v137, v135
	v_pack_b32_f16 v2, v119, v117
	v_pk_add_f16 v1, v19, v1
	ds_write2_b32 v12, v2, v0 offset0:5 offset1:6
	v_pack_b32_f16 v0, v155, v153
	ds_write2_b32 v12, v1, v0 offset1:7
	v_pk_mul_f16 v0, v20, s18 op_sel_hi:[1,0]
	v_pk_fma_f16 v1, v14, s24, v0 op_sel:[0,0,1] op_sel_hi:[1,0,0] neg_lo:[1,0,0] neg_hi:[1,0,0]
	v_pk_mul_f16 v2, v23, s28 op_sel_hi:[1,0]
	v_pk_add_f16 v1, v1, v102
	v_pk_fma_f16 v3, v21, s10, v2 op_sel_hi:[1,0,1] neg_lo:[0,0,1] neg_hi:[0,0,1]
	v_pk_add_f16 v1, v3, v1
	v_pk_mul_f16 v3, v24, s22 op_sel_hi:[1,0]
	v_pk_fma_f16 v4, v22, s23, v3 op_sel:[0,0,1] op_sel_hi:[1,0,0] neg_lo:[1,0,0] neg_hi:[1,0,0]
	v_pk_add_f16 v1, v4, v1
	v_pk_mul_f16 v4, v27, s11 op_sel_hi:[1,0]
	v_pk_fma_f16 v5, v25, s21, v4 op_sel:[0,0,1] op_sel_hi:[1,0,0] neg_lo:[1,0,0] neg_hi:[1,0,0]
	v_pk_add_f16 v1, v5, v1
	v_pk_mul_f16 v5, v30, s17 op_sel_hi:[1,0]
	v_pk_fma_f16 v0, v14, s24, v0 op_sel:[0,0,1] op_sel_hi:[1,0,0]
	v_pk_fma_f16 v6, v28, s15, v5 op_sel:[0,0,1] op_sel_hi:[1,0,0] neg_lo:[1,0,0] neg_hi:[1,0,0]
	v_pk_add_f16 v0, v0, v102
	v_pk_fma_f16 v2, v21, s10, v2 op_sel_hi:[1,0,1]
	v_pk_add_f16 v1, v6, v1
	v_pk_mul_f16 v6, v34, s14 op_sel_hi:[1,0]
	v_pk_add_f16 v0, v2, v0
	v_pk_fma_f16 v2, v22, s23, v3 op_sel:[0,0,1] op_sel_hi:[1,0,0]
	v_pk_fma_f16 v7, v32, s26, v6 op_sel:[0,0,1] op_sel_hi:[1,0,0] neg_lo:[1,0,0] neg_hi:[1,0,0]
	v_pk_add_f16 v0, v2, v0
	v_pk_fma_f16 v2, v25, s21, v4 op_sel:[0,0,1] op_sel_hi:[1,0,0]
	v_pk_add_f16 v1, v7, v1
	v_pk_mul_f16 v7, v40, s20 op_sel_hi:[1,0]
	v_pk_add_f16 v0, v2, v0
	v_pk_fma_f16 v2, v28, s15, v5 op_sel:[0,0,1] op_sel_hi:[1,0,0]
	v_pk_fma_f16 v8, v37, s19, v7 op_sel:[0,0,1] op_sel_hi:[1,0,0] neg_lo:[1,0,0] neg_hi:[1,0,0]
	v_pk_add_f16 v0, v2, v0
	v_pk_fma_f16 v2, v32, s26, v6 op_sel:[0,0,1] op_sel_hi:[1,0,0]
	;; [unrolled: 7-line block ×3, first 2 shown]
	v_fma_f16 v171, v52, s20, v170
	v_pk_add_f16 v1, v9, v1
	v_pk_add_f16 v0, v2, v0
	v_add_f16_e32 v163, v171, v163
	v_alignbit_b32 v2, v1, v0, 16
	v_alignbit_b32 v0, v0, v1, 16
	ds_write2_b32 v12, v0, v2 offset0:8 offset1:9
	v_pack_b32_f16 v0, v145, v136
	v_pack_b32_f16 v1, v163, v154
	ds_write2_b32 v12, v1, v0 offset0:10 offset1:11
	v_pack_b32_f16 v0, v109, v86
	v_pack_b32_f16 v1, v127, v118
	s_mov_b32 s10, 0x5040100
	ds_write2_b32 v12, v1, v0 offset0:12 offset1:13
	v_perm_b32 v0, v47, v18, s10
	v_perm_b32 v1, v48, v17, s10
	ds_write2_b32 v12, v1, v0 offset0:14 offset1:15
	v_perm_b32 v0, v49, v46, s10
	ds_write_b32 v12, v0 offset:64
.LBB0_7:
	s_or_b64 exec, exec, s[4:5]
	s_movk_i32 s4, 0xee
	v_add_co_u32_e32 v0, vcc, s4, v43
	s_movk_i32 s4, 0x165
	v_add_co_u32_e32 v1, vcc, s4, v43
	;; [unrolled: 2-line block ×5, first 2 shown]
	s_movk_i32 s4, 0xf1
	v_add_u16_e32 v21, 0x77, v43
	v_mul_lo_u16_sdwa v14, v43, s4 dst_sel:DWORD dst_unused:UNUSED_PAD src0_sel:BYTE_0 src1_sel:DWORD
	v_mul_lo_u16_sdwa v22, v21, s4 dst_sel:DWORD dst_unused:UNUSED_PAD src0_sel:BYTE_0 src1_sel:DWORD
	s_mov_b32 s4, 0xf0f1
	v_lshrrev_b16_e32 v15, 12, v14
	v_mul_u32_u24_sdwa v7, v0, s4 dst_sel:DWORD dst_unused:UNUSED_PAD src0_sel:WORD_0 src1_sel:DWORD
	v_mul_lo_u16_e32 v5, 17, v15
	v_lshrrev_b32_e32 v24, 20, v7
	v_sub_u16_e32 v5, v43, v5
	v_lshrrev_b16_e32 v20, 12, v22
	v_mul_lo_u16_e32 v7, 17, v24
	v_and_b32_e32 v19, 0xff, v5
	v_mul_lo_u16_e32 v6, 17, v20
	v_sub_u16_e32 v25, v0, v7
	v_mul_u32_u24_sdwa v7, v1, s4 dst_sel:DWORD dst_unused:UNUSED_PAD src0_sel:WORD_0 src1_sel:DWORD
	v_lshlrev_b32_e32 v5, 2, v19
	v_sub_u16_e32 v6, v21, v6
	v_lshrrev_b32_e32 v26, 20, v7
	s_load_dwordx4 s[8:11], s[8:9], 0x0
	s_waitcnt lgkmcnt(0)
	s_barrier
	v_and_b32_e32 v23, 0xff, v6
	global_load_dword v50, v5, s[2:3]
	v_mul_lo_u16_e32 v5, 17, v26
	v_lshlrev_b32_e32 v6, 2, v23
	v_sub_u16_e32 v27, v1, v5
	v_mul_u32_u24_sdwa v5, v2, s4 dst_sel:DWORD dst_unused:UNUSED_PAD src0_sel:WORD_0 src1_sel:DWORD
	global_load_dword v51, v6, s[2:3]
	v_lshrrev_b32_e32 v28, 20, v5
	v_lshlrev_b32_e32 v0, 2, v25
	v_mul_lo_u16_e32 v5, 17, v28
	global_load_dword v52, v0, s[2:3]
	v_sub_u16_e32 v29, v2, v5
	v_mul_u32_u24_sdwa v2, v3, s4 dst_sel:DWORD dst_unused:UNUSED_PAD src0_sel:WORD_0 src1_sel:DWORD
	v_lshlrev_b32_e32 v1, 2, v27
	global_load_dword v53, v1, s[2:3]
	v_lshrrev_b32_e32 v30, 20, v2
	v_mul_lo_u16_e32 v1, 17, v30
	v_lshlrev_b32_e32 v0, 2, v29
	v_sub_u16_e32 v31, v3, v1
	v_mul_u32_u24_sdwa v1, v4, s4 dst_sel:DWORD dst_unused:UNUSED_PAD src0_sel:WORD_0 src1_sel:DWORD
	global_load_dword v54, v0, s[2:3]
	v_lshlrev_b32_e32 v0, 2, v31
	v_lshrrev_b32_e32 v32, 20, v1
	global_load_dword v55, v0, s[2:3]
	v_mul_lo_u16_e32 v0, 17, v32
	v_sub_u16_e32 v33, v4, v0
	v_lshlrev_b32_e32 v0, 2, v33
	global_load_dword v56, v0, s[2:3]
	v_mov_b32_e32 v0, 2
	v_lshlrev_b32_sdwa v44, v0, v43 dst_sel:DWORD dst_unused:UNUSED_PAD src0_sel:DWORD src1_sel:WORD_0
	v_add_u32_e32 v42, 0xa00, v44
	ds_read2_b32 v[2:3], v42 offset0:74 offset1:193
	v_add_u32_e32 v80, 0xe00, v44
	ds_read2_b32 v[4:5], v80 offset0:56 offset1:175
	v_add_u32_e32 v82, 0x1200, v44
	ds_read2_b32 v[8:9], v82 offset0:38 offset1:157
	s_waitcnt lgkmcnt(2)
	v_lshrrev_b32_e32 v35, 16, v3
	v_add_u32_e32 v83, 0x1600, v44
	s_waitcnt lgkmcnt(1)
	v_lshrrev_b32_e32 v37, 16, v4
	v_lshrrev_b32_e32 v39, 16, v5
	ds_read2_b32 v[12:13], v83 offset0:20 offset1:139
	s_waitcnt lgkmcnt(1)
	v_lshrrev_b32_e32 v57, 16, v8
	v_lshrrev_b32_e32 v59, 16, v9
	ds_read2_b32 v[0:1], v44 offset1:119
	v_add_u32_e32 v84, 0x600, v44
	s_waitcnt lgkmcnt(1)
	v_lshrrev_b32_e32 v61, 16, v12
	v_add_u32_e32 v81, 0x200, v44
	ds_read2_b32 v[10:11], v84 offset0:92 offset1:211
	v_lshrrev_b32_e32 v63, 16, v13
	ds_read2_b32 v[6:7], v81 offset0:110 offset1:229
	s_waitcnt lgkmcnt(2)
	v_lshrrev_b32_e32 v34, 16, v0
	v_mul_lo_u16_e32 v15, 34, v15
	v_lshrrev_b32_e32 v36, 16, v1
	v_and_b32_e32 v15, 0xfe, v15
	s_waitcnt lgkmcnt(1)
	v_lshrrev_b32_e32 v58, 16, v10
	s_waitcnt lgkmcnt(0)
	v_lshrrev_b32_e32 v38, 16, v6
	s_waitcnt vmcnt(0)
	s_barrier
	v_lshrrev_b32_e32 v40, 16, v7
	v_lshrrev_b32_e32 v60, 16, v11
	v_lshrrev_b32_e32 v62, 16, v2
	s_mov_b32 s14, 0xbcab
	s_movk_i32 s15, 0x39e0
	s_mov_b32 s17, 0xb9e0
	s_movk_i32 s18, 0x3574
	;; [unrolled: 2-line block ×3, first 2 shown]
	v_mul_f16_sdwa v64, v35, v50 dst_sel:DWORD dst_unused:UNUSED_PAD src0_sel:DWORD src1_sel:WORD_1
	v_fma_f16 v64, v3, v50, -v64
	v_mul_f16_sdwa v3, v3, v50 dst_sel:DWORD dst_unused:UNUSED_PAD src0_sel:DWORD src1_sel:WORD_1
	v_fma_f16 v3, v35, v50, v3
	v_sub_f16_e32 v3, v34, v3
	v_mul_f16_sdwa v35, v37, v51 dst_sel:DWORD dst_unused:UNUSED_PAD src0_sel:DWORD src1_sel:WORD_1
	v_fma_f16 v35, v4, v51, -v35
	v_mul_f16_sdwa v4, v4, v51 dst_sel:DWORD dst_unused:UNUSED_PAD src0_sel:DWORD src1_sel:WORD_1
	v_fma_f16 v4, v37, v51, v4
	v_mul_f16_sdwa v37, v39, v52 dst_sel:DWORD dst_unused:UNUSED_PAD src0_sel:DWORD src1_sel:WORD_1
	v_fma_f16 v37, v5, v52, -v37
	v_mul_f16_sdwa v5, v5, v52 dst_sel:DWORD dst_unused:UNUSED_PAD src0_sel:DWORD src1_sel:WORD_1
	v_fma_f16 v5, v39, v52, v5
	;; [unrolled: 4-line block ×3, first 2 shown]
	v_fma_f16 v34, v34, 2.0, -v3
	v_sub_f16_e32 v35, v1, v35
	v_mul_f16_sdwa v57, v59, v54 dst_sel:DWORD dst_unused:UNUSED_PAD src0_sel:DWORD src1_sel:WORD_1
	v_fma_f16 v57, v9, v54, -v57
	v_mul_f16_sdwa v9, v9, v54 dst_sel:DWORD dst_unused:UNUSED_PAD src0_sel:DWORD src1_sel:WORD_1
	v_fma_f16 v9, v59, v54, v9
	v_mul_f16_sdwa v59, v61, v55 dst_sel:DWORD dst_unused:UNUSED_PAD src0_sel:DWORD src1_sel:WORD_1
	v_fma_f16 v59, v12, v55, -v59
	v_mul_f16_sdwa v12, v12, v55 dst_sel:DWORD dst_unused:UNUSED_PAD src0_sel:DWORD src1_sel:WORD_1
	v_fma_f16 v12, v61, v55, v12
	;; [unrolled: 4-line block ×3, first 2 shown]
	v_sub_f16_e32 v63, v0, v64
	v_fma_f16 v0, v0, 2.0, -v63
	v_sub_f16_e32 v4, v36, v4
	v_sub_f16_e32 v64, v10, v57
	v_add_lshl_u32 v57, v15, v19, 2
	v_pack_b32_f16 v0, v0, v34
	v_pack_b32_f16 v3, v63, v3
	v_fma_f16 v1, v1, 2.0, -v35
	v_fma_f16 v36, v36, 2.0, -v4
	v_sub_f16_e32 v9, v58, v9
	ds_write2_b32 v57, v0, v3 offset1:17
	v_mul_u32_u24_e32 v0, 34, v20
	v_sub_f16_e32 v37, v6, v37
	v_sub_f16_e32 v5, v38, v5
	v_fma_f16 v65, v58, 2.0, -v9
	v_add_lshl_u32 v58, v0, v23, 2
	v_pack_b32_f16 v0, v1, v36
	v_pack_b32_f16 v1, v35, v4
	v_fma_f16 v6, v6, 2.0, -v37
	v_fma_f16 v38, v38, 2.0, -v5
	ds_write2_b32 v58, v0, v1 offset1:17
	v_mad_legacy_u16 v0, v24, 34, v25
	v_sub_f16_e32 v39, v7, v39
	v_sub_f16_e32 v8, v40, v8
	;; [unrolled: 1-line block ×3, first 2 shown]
	v_lshlrev_b32_e32 v59, 2, v0
	v_pack_b32_f16 v0, v6, v38
	v_pack_b32_f16 v1, v37, v5
	v_fma_f16 v7, v7, 2.0, -v39
	v_fma_f16 v40, v40, 2.0, -v8
	v_sub_f16_e32 v12, v60, v12
	ds_write2_b32 v59, v0, v1 offset1:17
	v_mad_legacy_u16 v0, v26, 34, v27
	v_fma_f16 v67, v60, 2.0, -v12
	v_lshlrev_b32_e32 v60, 2, v0
	v_pack_b32_f16 v0, v7, v40
	v_pack_b32_f16 v1, v39, v8
	v_fma_f16 v10, v10, 2.0, -v64
	ds_write2_b32 v60, v0, v1 offset1:17
	v_mad_legacy_u16 v0, v28, 34, v29
	v_sub_f16_e32 v68, v2, v61
	v_lshlrev_b32_e32 v61, 2, v0
	v_pack_b32_f16 v0, v10, v65
	v_pack_b32_f16 v1, v64, v9
	v_fma_f16 v11, v11, 2.0, -v66
	v_sub_f16_e32 v13, v62, v13
	ds_write2_b32 v61, v0, v1 offset1:17
	v_mad_legacy_u16 v0, v30, 34, v31
	v_fma_f16 v69, v62, 2.0, -v13
	v_lshlrev_b32_e32 v62, 2, v0
	v_pack_b32_f16 v0, v11, v67
	v_pack_b32_f16 v1, v66, v12
	v_fma_f16 v2, v2, 2.0, -v68
	ds_write2_b32 v62, v0, v1 offset1:17
	v_mad_legacy_u16 v0, v32, 34, v33
	v_lshlrev_b32_e32 v63, 2, v0
	v_pack_b32_f16 v0, v2, v69
	v_pack_b32_f16 v1, v68, v13
	v_lshrrev_b16_e32 v29, 13, v14
	ds_write2_b32 v63, v0, v1 offset1:17
	v_mul_lo_u16_e32 v0, 34, v29
	v_sub_u16_e32 v0, v43, v0
	v_and_b32_e32 v30, 0xff, v0
	v_mad_u64_u32 v[4:5], s[4:5], v30, 24, s[2:3]
	s_waitcnt lgkmcnt(0)
	s_barrier
	global_load_dwordx4 v[0:3], v[4:5], off offset:68
	global_load_dwordx2 v[19:20], v[4:5], off offset:84
	v_lshrrev_b16_e32 v31, 13, v22
	v_mul_lo_u16_e32 v4, 34, v31
	v_sub_u16_e32 v4, v21, v4
	v_and_b32_e32 v32, 0xff, v4
	v_mad_u64_u32 v[8:9], s[4:5], v32, 24, s[2:3]
	global_load_dwordx4 v[4:7], v[8:9], off offset:68
	global_load_dwordx2 v[21:22], v[8:9], off offset:84
	ds_read2_b32 v[8:9], v81 offset0:110 offset1:229
	ds_read2_b32 v[10:11], v44 offset1:119
	ds_read2_b32 v[12:13], v84 offset0:92 offset1:211
	ds_read2_b32 v[14:15], v42 offset0:74 offset1:193
	;; [unrolled: 1-line block ×5, first 2 shown]
	s_waitcnt lgkmcnt(4)
	v_lshrrev_b32_e32 v34, 16, v12
	s_waitcnt lgkmcnt(3)
	v_lshrrev_b32_e32 v35, 16, v14
	v_lshrrev_b32_e32 v33, 16, v8
	s_waitcnt lgkmcnt(2)
	v_lshrrev_b32_e32 v36, 16, v23
	s_waitcnt lgkmcnt(1)
	;; [unrolled: 2-line block ×3, first 2 shown]
	v_lshrrev_b32_e32 v38, 16, v27
	v_lshrrev_b32_e32 v39, 16, v9
	;; [unrolled: 1-line block ×7, first 2 shown]
	s_movk_i32 s5, 0x2b26
	s_movk_i32 s4, 0x3b00
	v_mul_u32_u24_e32 v29, 0xee, v29
	s_waitcnt vmcnt(0)
	s_barrier
	v_mul_f16_sdwa v68, v33, v0 dst_sel:DWORD dst_unused:UNUSED_PAD src0_sel:DWORD src1_sel:WORD_1
	v_fma_f16 v68, v8, v0, -v68
	v_mul_f16_sdwa v8, v8, v0 dst_sel:DWORD dst_unused:UNUSED_PAD src0_sel:DWORD src1_sel:WORD_1
	v_fma_f16 v8, v33, v0, v8
	v_mul_f16_sdwa v33, v34, v1 dst_sel:DWORD dst_unused:UNUSED_PAD src0_sel:DWORD src1_sel:WORD_1
	v_fma_f16 v33, v12, v1, -v33
	v_mul_f16_sdwa v12, v12, v1 dst_sel:DWORD dst_unused:UNUSED_PAD src0_sel:DWORD src1_sel:WORD_1
	v_fma_f16 v12, v34, v1, v12
	;; [unrolled: 4-line block ×12, first 2 shown]
	v_add_f16_e32 v67, v68, v37
	v_add_f16_e32 v69, v8, v27
	v_sub_f16_e32 v37, v68, v37
	v_sub_f16_e32 v8, v8, v27
	v_add_f16_e32 v27, v33, v36
	v_add_f16_e32 v68, v12, v25
	v_sub_f16_e32 v33, v33, v36
	v_sub_f16_e32 v12, v12, v25
	;; [unrolled: 4-line block ×4, first 2 shown]
	v_sub_f16_e32 v67, v67, v25
	v_sub_f16_e32 v69, v69, v36
	v_sub_f16_e32 v27, v25, v27
	v_sub_f16_e32 v68, v36, v68
	v_add_f16_e32 v72, v34, v33
	v_add_f16_e32 v73, v14, v12
	v_sub_f16_e32 v74, v34, v33
	v_sub_f16_e32 v75, v14, v12
	;; [unrolled: 1-line block ×4, first 2 shown]
	v_add_f16_e32 v23, v25, v23
	v_add_f16_e32 v25, v36, v35
	v_sub_f16_e32 v34, v37, v34
	v_sub_f16_e32 v14, v8, v14
	v_add_f16_e32 v35, v72, v37
	v_add_f16_e32 v8, v73, v8
	;; [unrolled: 1-line block ×3, first 2 shown]
	v_add_f16_sdwa v10, v10, v25 dst_sel:DWORD dst_unused:UNUSED_PAD src0_sel:WORD_1 src1_sel:DWORD
	v_mul_f16_e32 v37, 0x3a52, v67
	v_mul_f16_e32 v67, 0x3a52, v69
	;; [unrolled: 1-line block ×8, first 2 shown]
	v_fma_f16 v23, v23, s14, v36
	v_fma_f16 v25, v25, s14, v10
	;; [unrolled: 1-line block ×4, first 2 shown]
	v_fma_f16 v69, v70, s15, -v69
	v_fma_f16 v72, v71, s15, -v72
	;; [unrolled: 1-line block ×4, first 2 shown]
	v_fma_f16 v70, v34, s18, v73
	v_fma_f16 v71, v14, s18, v74
	v_fma_f16 v12, v12, s4, -v74
	v_fma_f16 v34, v34, s19, -v75
	;; [unrolled: 1-line block ×4, first 2 shown]
	v_add_f16_e32 v27, v27, v23
	v_add_f16_e32 v68, v68, v25
	;; [unrolled: 1-line block ×6, first 2 shown]
	v_fma_f16 v37, v35, s16, v70
	v_fma_f16 v67, v8, s16, v71
	;; [unrolled: 1-line block ×6, first 2 shown]
	v_add_f16_e32 v14, v67, v27
	v_sub_f16_e32 v35, v68, v37
	v_add_f16_e32 v70, v8, v23
	v_sub_f16_e32 v71, v25, v34
	v_sub_f16_e32 v8, v23, v8
	v_add_f16_e32 v23, v34, v25
	v_sub_f16_e32 v25, v27, v67
	v_add_f16_e32 v27, v37, v68
	v_add_f16_e32 v34, v38, v66
	;; [unrolled: 1-line block ×3, first 2 shown]
	v_sub_f16_e32 v9, v9, v28
	v_add_f16_e32 v28, v39, v65
	v_sub_f16_e32 v38, v38, v66
	v_add_f16_e32 v66, v13, v26
	v_sub_f16_e32 v39, v39, v65
	v_sub_f16_e32 v13, v13, v26
	v_add_f16_e32 v26, v40, v64
	v_add_f16_e32 v65, v15, v24
	v_sub_f16_e32 v40, v64, v40
	v_sub_f16_e32 v15, v24, v15
	v_add_f16_e32 v24, v28, v34
	v_sub_f16_e32 v73, v69, v12
	v_add_f16_e32 v74, v33, v72
	v_add_f16_e32 v12, v12, v69
	v_sub_f16_e32 v33, v72, v33
	v_add_f16_e32 v64, v66, v37
	v_sub_f16_e32 v67, v28, v34
	v_sub_f16_e32 v28, v26, v28
	v_add_f16_e32 v69, v40, v39
	v_add_f16_e32 v72, v15, v13
	v_sub_f16_e32 v75, v40, v39
	v_sub_f16_e32 v76, v15, v13
	v_add_f16_e32 v24, v26, v24
	v_sub_f16_e32 v34, v34, v26
	v_sub_f16_e32 v40, v38, v40
	;; [unrolled: 1-line block ×5, first 2 shown]
	v_add_f16_e32 v26, v65, v64
	v_add_f16_e32 v38, v69, v38
	v_add_f16_e32 v9, v72, v9
	v_add_f16_e32 v69, v11, v24
	v_mul_f16_e32 v64, 0x2b26, v28
	v_mul_f16_e32 v72, 0xb846, v75
	;; [unrolled: 1-line block ×4, first 2 shown]
	v_fma_f16 v24, v24, s14, v69
	v_fma_f16 v64, v67, s15, -v64
	v_fma_f16 v13, v13, s4, -v75
	v_mul_f16_e32 v34, 0x3a52, v34
	v_add_f16_e32 v64, v64, v24
	v_fma_f16 v13, v9, s16, v13
	v_sub_f16_e32 v68, v66, v37
	v_sub_f16_e32 v37, v37, v65
	;; [unrolled: 1-line block ×3, first 2 shown]
	v_mul_f16_e32 v76, 0x3b00, v39
	v_fma_f16 v28, v28, s5, v34
	v_fma_f16 v34, v67, s17, -v34
	v_fma_f16 v67, v40, s18, v72
	v_fma_f16 v39, v39, s4, -v72
	v_sub_f16_e32 v72, v64, v13
	v_add_f16_e32 v13, v13, v64
	v_add_lshl_u32 v64, v29, v30, 2
	v_pack_b32_f16 v10, v36, v10
	v_pack_b32_f16 v14, v14, v35
	v_add_f16_sdwa v11, v11, v26 dst_sel:DWORD dst_unused:UNUSED_PAD src0_sel:WORD_1 src1_sel:DWORD
	v_mul_f16_e32 v37, 0x3a52, v37
	v_mul_f16_e32 v65, 0x2b26, v66
	ds_write2_b32 v64, v10, v14 offset1:34
	v_pack_b32_f16 v10, v70, v71
	v_pack_b32_f16 v14, v73, v74
	v_fma_f16 v26, v26, s14, v11
	v_fma_f16 v66, v66, s5, v37
	v_fma_f16 v65, v68, s15, -v65
	v_fma_f16 v37, v68, s17, -v37
	v_fma_f16 v68, v15, s18, v75
	ds_write2_b32 v64, v10, v14 offset0:68 offset1:102
	v_pack_b32_f16 v10, v12, v33
	v_pack_b32_f16 v8, v8, v23
	v_fma_f16 v40, v40, s19, -v76
	v_fma_f16 v15, v15, s19, -v77
	v_add_f16_e32 v28, v28, v24
	v_add_f16_e32 v66, v66, v26
	;; [unrolled: 1-line block ×5, first 2 shown]
	v_fma_f16 v34, v38, s16, v67
	v_fma_f16 v37, v9, s16, v68
	ds_write2_b32 v64, v10, v8 offset0:136 offset1:170
	v_pack_b32_f16 v8, v25, v27
	v_fma_f16 v39, v38, s16, v39
	v_fma_f16 v38, v38, s16, v40
	;; [unrolled: 1-line block ×3, first 2 shown]
	v_add_f16_e32 v15, v37, v28
	v_sub_f16_e32 v40, v66, v34
	ds_write_b32 v64, v8 offset:816
	v_mul_u32_u24_e32 v8, 0xee, v31
	v_add_f16_e32 v67, v9, v24
	v_sub_f16_e32 v68, v26, v38
	v_add_f16_e32 v75, v39, v65
	v_sub_f16_e32 v39, v65, v39
	v_add_lshl_u32 v65, v8, v32, 2
	v_pack_b32_f16 v8, v69, v11
	v_pack_b32_f16 v10, v15, v40
	v_sub_f16_e32 v9, v24, v9
	v_add_f16_e32 v24, v38, v26
	ds_write2_b32 v65, v8, v10 offset1:34
	v_pack_b32_f16 v8, v67, v68
	v_pack_b32_f16 v10, v72, v75
	v_sub_f16_e32 v26, v28, v37
	v_add_f16_e32 v28, v34, v66
	ds_write2_b32 v65, v8, v10 offset0:68 offset1:102
	v_pack_b32_f16 v8, v13, v39
	v_pack_b32_f16 v9, v9, v24
	ds_write2_b32 v65, v8, v9 offset0:136 offset1:170
	v_pack_b32_f16 v8, v26, v28
	v_mad_u64_u32 v[27:28], s[2:3], v43, 24, s[2:3]
	ds_write_b32 v65, v8 offset:816
	s_waitcnt lgkmcnt(0)
	s_barrier
	global_load_dwordx4 v[8:11], v[27:28], off offset:884
	global_load_dwordx2 v[23:24], v[27:28], off offset:900
	global_load_dwordx4 v[12:15], v[27:28], off offset:3740
	global_load_dwordx2 v[25:26], v[27:28], off offset:3756
	ds_read2_b32 v[27:28], v81 offset0:110 offset1:229
	ds_read2_b32 v[34:35], v44 offset1:119
	ds_read2_b32 v[29:30], v84 offset0:92 offset1:211
	ds_read2_b32 v[31:32], v42 offset0:74 offset1:193
	;; [unrolled: 1-line block ×5, first 2 shown]
	s_waitcnt lgkmcnt(4)
	v_lshrrev_b32_e32 v40, 16, v29
	s_waitcnt lgkmcnt(3)
	v_lshrrev_b32_e32 v68, 16, v31
	v_lshrrev_b32_e32 v33, 16, v27
	s_waitcnt lgkmcnt(2)
	v_lshrrev_b32_e32 v69, 16, v36
	s_waitcnt lgkmcnt(1)
	;; [unrolled: 2-line block ×3, first 2 shown]
	v_lshrrev_b32_e32 v71, 16, v66
	v_lshrrev_b32_e32 v72, 16, v28
	v_lshrrev_b32_e32 v73, 16, v30
	v_lshrrev_b32_e32 v74, 16, v32
	v_lshrrev_b32_e32 v75, 16, v37
	v_lshrrev_b32_e32 v76, 16, v39
	v_lshrrev_b32_e32 v77, 16, v67
	s_waitcnt vmcnt(3)
	v_mul_f16_sdwa v78, v33, v8 dst_sel:DWORD dst_unused:UNUSED_PAD src0_sel:DWORD src1_sel:WORD_1
	v_fma_f16 v78, v27, v8, -v78
	v_mul_f16_sdwa v27, v27, v8 dst_sel:DWORD dst_unused:UNUSED_PAD src0_sel:DWORD src1_sel:WORD_1
	v_fma_f16 v27, v33, v8, v27
	v_mul_f16_sdwa v33, v40, v9 dst_sel:DWORD dst_unused:UNUSED_PAD src0_sel:DWORD src1_sel:WORD_1
	v_fma_f16 v33, v29, v9, -v33
	v_mul_f16_sdwa v29, v29, v9 dst_sel:DWORD dst_unused:UNUSED_PAD src0_sel:DWORD src1_sel:WORD_1
	v_fma_f16 v29, v40, v9, v29
	;; [unrolled: 4-line block ×4, first 2 shown]
	s_waitcnt vmcnt(2)
	v_mul_f16_sdwa v69, v70, v23 dst_sel:DWORD dst_unused:UNUSED_PAD src0_sel:DWORD src1_sel:WORD_1
	v_fma_f16 v69, v38, v23, -v69
	v_mul_f16_sdwa v38, v38, v23 dst_sel:DWORD dst_unused:UNUSED_PAD src0_sel:DWORD src1_sel:WORD_1
	v_fma_f16 v38, v70, v23, v38
	v_mul_f16_sdwa v70, v71, v24 dst_sel:DWORD dst_unused:UNUSED_PAD src0_sel:DWORD src1_sel:WORD_1
	v_fma_f16 v70, v66, v24, -v70
	v_mul_f16_sdwa v66, v66, v24 dst_sel:DWORD dst_unused:UNUSED_PAD src0_sel:DWORD src1_sel:WORD_1
	v_fma_f16 v66, v71, v24, v66
	s_waitcnt vmcnt(1)
	v_mul_f16_sdwa v71, v72, v12 dst_sel:DWORD dst_unused:UNUSED_PAD src0_sel:DWORD src1_sel:WORD_1
	v_fma_f16 v79, v28, v12, -v71
	v_mul_f16_sdwa v28, v28, v12 dst_sel:DWORD dst_unused:UNUSED_PAD src0_sel:DWORD src1_sel:WORD_1
	v_fma_f16 v85, v72, v12, v28
	v_mul_f16_sdwa v28, v73, v13 dst_sel:DWORD dst_unused:UNUSED_PAD src0_sel:DWORD src1_sel:WORD_1
	v_fma_f16 v86, v30, v13, -v28
	v_mul_f16_sdwa v28, v30, v13 dst_sel:DWORD dst_unused:UNUSED_PAD src0_sel:DWORD src1_sel:WORD_1
	v_fma_f16 v73, v73, v13, v28
	;; [unrolled: 4-line block ×4, first 2 shown]
	s_waitcnt vmcnt(0)
	v_mul_f16_sdwa v28, v76, v25 dst_sel:DWORD dst_unused:UNUSED_PAD src0_sel:DWORD src1_sel:WORD_1
	v_fma_f16 v75, v39, v25, -v28
	v_mul_f16_sdwa v28, v39, v25 dst_sel:DWORD dst_unused:UNUSED_PAD src0_sel:DWORD src1_sel:WORD_1
	v_fma_f16 v39, v76, v25, v28
	v_mul_f16_sdwa v28, v77, v26 dst_sel:DWORD dst_unused:UNUSED_PAD src0_sel:DWORD src1_sel:WORD_1
	v_fma_f16 v76, v67, v26, -v28
	v_mul_f16_sdwa v28, v67, v26 dst_sel:DWORD dst_unused:UNUSED_PAD src0_sel:DWORD src1_sel:WORD_1
	v_fma_f16 v77, v77, v26, v28
	v_add_f16_e32 v28, v78, v70
	v_add_f16_e32 v30, v27, v66
	v_sub_f16_e32 v27, v27, v66
	v_add_f16_e32 v66, v33, v69
	v_add_f16_e32 v67, v29, v38
	v_sub_f16_e32 v32, v78, v70
	v_sub_f16_e32 v33, v33, v69
	;; [unrolled: 1-line block ×3, first 2 shown]
	v_add_f16_e32 v38, v40, v68
	v_add_f16_e32 v69, v31, v36
	v_sub_f16_e32 v40, v68, v40
	v_sub_f16_e32 v31, v36, v31
	v_add_f16_e32 v36, v66, v28
	v_add_f16_e32 v68, v67, v30
	v_sub_f16_e32 v70, v66, v28
	v_sub_f16_e32 v71, v67, v30
	v_sub_f16_e32 v28, v28, v38
	v_sub_f16_e32 v30, v30, v69
	v_sub_f16_e32 v72, v38, v66
	v_sub_f16_e32 v67, v69, v67
	v_add_f16_e32 v66, v40, v33
	v_add_f16_e32 v78, v31, v29
	v_sub_f16_e32 v89, v40, v33
	v_sub_f16_e32 v90, v31, v29
	;; [unrolled: 1-line block ×4, first 2 shown]
	v_add_f16_e32 v36, v38, v36
	v_add_f16_e32 v38, v69, v68
	v_sub_f16_e32 v40, v32, v40
	v_sub_f16_e32 v31, v27, v31
	v_add_f16_e32 v32, v66, v32
	v_add_f16_e32 v68, v78, v27
	;; [unrolled: 1-line block ×3, first 2 shown]
	v_add_f16_sdwa v66, v34, v38 dst_sel:DWORD dst_unused:UNUSED_PAD src0_sel:WORD_1 src1_sel:DWORD
	v_mul_f16_e32 v28, 0x3a52, v28
	v_mul_f16_e32 v30, 0x3a52, v30
	;; [unrolled: 1-line block ×8, first 2 shown]
	v_fma_f16 v36, v36, s14, v27
	v_fma_f16 v38, v38, s14, v66
	v_fma_f16 v72, v72, s5, v28
	v_fma_f16 v67, v67, s5, v30
	v_fma_f16 v34, v70, s15, -v34
	v_fma_f16 v69, v71, s15, -v69
	;; [unrolled: 1-line block ×4, first 2 shown]
	v_fma_f16 v70, v40, s18, v78
	v_fma_f16 v71, v31, s18, v89
	v_fma_f16 v33, v33, s4, -v78
	v_fma_f16 v29, v29, s4, -v89
	;; [unrolled: 1-line block ×4, first 2 shown]
	v_add_f16_e32 v72, v72, v36
	v_add_f16_e32 v78, v67, v38
	;; [unrolled: 1-line block ×6, first 2 shown]
	v_fma_f16 v90, v32, s16, v70
	v_fma_f16 v33, v32, s16, v33
	;; [unrolled: 1-line block ×6, first 2 shown]
	v_add_f16_e32 v29, v32, v36
	v_sub_f16_e32 v68, v38, v40
	v_sub_f16_e32 v30, v34, v70
	v_add_f16_e32 v31, v70, v34
	v_sub_f16_e32 v32, v36, v32
	v_add_f16_e32 v71, v40, v38
	v_add_f16_e32 v34, v79, v76
	;; [unrolled: 1-line block ×3, first 2 shown]
	v_sub_f16_e32 v38, v79, v76
	v_sub_f16_e32 v40, v85, v77
	v_add_f16_e32 v76, v86, v75
	v_add_f16_e32 v77, v73, v39
	;; [unrolled: 1-line block ×3, first 2 shown]
	v_sub_f16_e32 v67, v78, v90
	v_add_f16_e32 v69, v33, v89
	v_sub_f16_e32 v70, v89, v33
	v_sub_f16_e32 v33, v72, v91
	v_add_f16_e32 v72, v90, v78
	v_sub_f16_e32 v75, v86, v75
	v_sub_f16_e32 v39, v73, v39
	v_add_f16_e32 v73, v87, v88
	v_add_f16_e32 v78, v74, v37
	v_sub_f16_e32 v79, v88, v87
	v_sub_f16_e32 v37, v37, v74
	v_add_f16_e32 v74, v76, v34
	v_add_f16_e32 v85, v77, v36
	v_sub_f16_e32 v86, v76, v34
	v_sub_f16_e32 v87, v77, v36
	;; [unrolled: 1-line block ×6, first 2 shown]
	v_add_f16_e32 v34, v79, v75
	v_add_f16_e32 v89, v37, v39
	v_sub_f16_e32 v90, v79, v75
	v_sub_f16_e32 v91, v37, v39
	v_add_f16_e32 v74, v73, v74
	v_add_f16_e32 v78, v78, v85
	v_sub_f16_e32 v79, v38, v79
	v_sub_f16_e32 v37, v40, v37
	;; [unrolled: 1-line block ×4, first 2 shown]
	v_add_f16_e32 v38, v34, v38
	v_add_f16_e32 v40, v89, v40
	v_add_f16_e32 v34, v35, v74
	v_add_f16_sdwa v73, v35, v78 dst_sel:DWORD dst_unused:UNUSED_PAD src0_sel:WORD_1 src1_sel:DWORD
	v_mul_f16_e32 v35, 0x3a52, v88
	v_mul_f16_e32 v36, 0x3a52, v36
	;; [unrolled: 1-line block ×8, first 2 shown]
	v_fma_f16 v74, v74, s14, v34
	v_fma_f16 v78, v78, s14, v73
	;; [unrolled: 1-line block ×4, first 2 shown]
	v_fma_f16 v85, v86, s15, -v85
	v_fma_f16 v88, v87, s15, -v88
	v_fma_f16 v35, v86, s17, -v35
	v_fma_f16 v36, v87, s17, -v36
	v_fma_f16 v86, v79, s18, v89
	v_fma_f16 v87, v37, s18, v90
	v_fma_f16 v75, v75, s4, -v89
	v_fma_f16 v39, v39, s4, -v90
	;; [unrolled: 1-line block ×4, first 2 shown]
	v_add_f16_e32 v89, v76, v74
	v_add_f16_e32 v90, v77, v78
	;; [unrolled: 1-line block ×4, first 2 shown]
	v_fma_f16 v86, v38, s16, v86
	v_fma_f16 v87, v40, s16, v87
	;; [unrolled: 1-line block ×4, first 2 shown]
	v_add_f16_e32 v88, v35, v74
	v_add_f16_e32 v78, v36, v78
	v_fma_f16 v79, v38, s16, v79
	v_fma_f16 v40, v40, s16, v37
	v_add_f16_e32 v35, v87, v89
	v_sub_f16_e32 v74, v90, v86
	v_sub_f16_e32 v37, v77, v39
	v_add_f16_e32 v76, v91, v85
	v_add_f16_e32 v38, v39, v77
	v_sub_f16_e32 v77, v85, v91
	v_pack_b32_f16 v85, v27, v66
	v_pack_b32_f16 v92, v34, v73
	v_add_f16_e32 v36, v40, v88
	v_sub_f16_e32 v75, v78, v79
	v_add_f16_e32 v78, v79, v78
	v_add_f16_e32 v79, v86, v90
	v_pack_b32_f16 v86, v28, v67
	ds_write2_b32 v44, v85, v92 offset1:119
	v_pack_b32_f16 v85, v35, v74
	v_sub_f16_e32 v39, v88, v40
	v_sub_f16_e32 v40, v89, v87
	v_pack_b32_f16 v87, v29, v68
	ds_write2_b32 v81, v86, v85 offset0:110 offset1:229
	v_pack_b32_f16 v81, v36, v75
	v_pack_b32_f16 v88, v30, v69
	ds_write2_b32 v84, v87, v81 offset0:92 offset1:211
	v_pack_b32_f16 v81, v37, v76
	;; [unrolled: 3-line block ×5, first 2 shown]
	ds_write2_b32 v83, v91, v42 offset0:20 offset1:139
	v_lshlrev_b32_e32 v42, 2, v43
	s_waitcnt lgkmcnt(0)
	s_barrier
	s_and_saveexec_b64 s[2:3], s[0:1]
	s_cbranch_execz .LBB0_9
; %bb.8:
	v_mov_b32_e32 v80, s7
	v_add_co_u32_e32 v84, vcc, s6, v41
	v_addc_co_u32_e32 v85, vcc, 0, v80, vcc
	v_add_co_u32_e32 v80, vcc, 0x1a08, v84
	v_addc_co_u32_e32 v81, vcc, 0, v85, vcc
	;; [unrolled: 2-line block ×3, first 2 shown]
	global_load_dword v86, v[82:83], off offset:2568
	global_load_dword v88, v[80:81], off offset:392
	global_load_dword v89, v[80:81], off offset:784
	global_load_dword v90, v[80:81], off offset:1176
	global_load_dword v91, v[80:81], off offset:1568
	global_load_dword v92, v[80:81], off offset:1960
	global_load_dword v93, v[80:81], off offset:2352
	global_load_dword v94, v[80:81], off offset:2744
	global_load_dword v95, v[80:81], off offset:3136
	s_movk_i32 s4, 0x2000
	v_add_co_u32_e32 v82, vcc, s4, v84
	s_movk_i32 s5, 0x3000
	v_addc_co_u32_e32 v83, vcc, 0, v85, vcc
	v_add_co_u32_e32 v84, vcc, s5, v84
	v_addc_co_u32_e32 v85, vcc, 0, v85, vcc
	global_load_dword v96, v[80:81], off offset:3528
	global_load_dword v97, v[82:83], off offset:2784
	;; [unrolled: 1-line block ×8, first 2 shown]
	ds_read_b32 v80, v44
	v_add_u32_e32 v103, 0x400, v42
	v_add_u32_e32 v104, 0x600, v42
	;; [unrolled: 1-line block ×3, first 2 shown]
	s_waitcnt lgkmcnt(0)
	v_lshrrev_b32_e32 v81, 16, v80
	s_waitcnt vmcnt(16)
	v_mul_f16_sdwa v82, v81, v86 dst_sel:DWORD dst_unused:UNUSED_PAD src0_sel:DWORD src1_sel:WORD_1
	v_mul_f16_sdwa v83, v80, v86 dst_sel:DWORD dst_unused:UNUSED_PAD src0_sel:DWORD src1_sel:WORD_1
	v_fma_f16 v80, v80, v86, -v82
	v_fma_f16 v81, v81, v86, v83
	v_pack_b32_f16 v80, v80, v81
	ds_write_b32 v44, v80
	ds_read2_b32 v[80:81], v42 offset0:98 offset1:196
	ds_read2_b32 v[82:83], v103 offset0:38 offset1:136
	;; [unrolled: 1-line block ×4, first 2 shown]
	s_waitcnt lgkmcnt(2)
	v_lshrrev_b32_e32 v111, 16, v82
	v_lshrrev_b32_e32 v107, 16, v80
	s_waitcnt vmcnt(15)
	v_mul_f16_sdwa v108, v80, v88 dst_sel:DWORD dst_unused:UNUSED_PAD src0_sel:DWORD src1_sel:WORD_1
	v_lshrrev_b32_e32 v109, 16, v81
	s_waitcnt vmcnt(14)
	v_mul_f16_sdwa v110, v81, v89 dst_sel:DWORD dst_unused:UNUSED_PAD src0_sel:DWORD src1_sel:WORD_1
	s_waitcnt vmcnt(13)
	v_mul_f16_sdwa v112, v82, v90 dst_sel:DWORD dst_unused:UNUSED_PAD src0_sel:DWORD src1_sel:WORD_1
	v_lshrrev_b32_e32 v113, 16, v83
	s_waitcnt vmcnt(12)
	v_mul_f16_sdwa v114, v83, v91 dst_sel:DWORD dst_unused:UNUSED_PAD src0_sel:DWORD src1_sel:WORD_1
	s_waitcnt lgkmcnt(1)
	v_lshrrev_b32_e32 v115, 16, v84
	s_waitcnt vmcnt(11)
	v_mul_f16_sdwa v116, v84, v92 dst_sel:DWORD dst_unused:UNUSED_PAD src0_sel:DWORD src1_sel:WORD_1
	v_lshrrev_b32_e32 v117, 16, v85
	v_mul_f16_sdwa v120, v107, v88 dst_sel:DWORD dst_unused:UNUSED_PAD src0_sel:DWORD src1_sel:WORD_1
	v_fma_f16 v107, v107, v88, v108
	v_mul_f16_sdwa v108, v109, v89 dst_sel:DWORD dst_unused:UNUSED_PAD src0_sel:DWORD src1_sel:WORD_1
	s_waitcnt vmcnt(10)
	v_mul_f16_sdwa v118, v85, v93 dst_sel:DWORD dst_unused:UNUSED_PAD src0_sel:DWORD src1_sel:WORD_1
	v_fma_f16 v109, v109, v89, v110
	v_mul_f16_sdwa v110, v111, v90 dst_sel:DWORD dst_unused:UNUSED_PAD src0_sel:DWORD src1_sel:WORD_1
	v_fma_f16 v111, v111, v90, v112
	;; [unrolled: 2-line block ×4, first 2 shown]
	v_mul_f16_sdwa v116, v117, v93 dst_sel:DWORD dst_unused:UNUSED_PAD src0_sel:DWORD src1_sel:WORD_1
	v_fma_f16 v80, v80, v88, -v120
	v_fma_f16 v81, v81, v89, -v108
	s_waitcnt lgkmcnt(0)
	v_lshrrev_b32_e32 v119, 16, v86
	v_fma_f16 v117, v117, v93, v118
	v_fma_f16 v82, v82, v90, -v110
	v_fma_f16 v83, v83, v91, -v112
	;; [unrolled: 1-line block ×4, first 2 shown]
	v_pack_b32_f16 v80, v80, v107
	v_pack_b32_f16 v81, v81, v109
	s_waitcnt vmcnt(9)
	v_mul_f16_sdwa v118, v119, v94 dst_sel:DWORD dst_unused:UNUSED_PAD src0_sel:DWORD src1_sel:WORD_1
	v_pack_b32_f16 v82, v82, v111
	v_pack_b32_f16 v83, v83, v113
	;; [unrolled: 1-line block ×4, first 2 shown]
	ds_write2_b32 v42, v80, v81 offset0:98 offset1:196
	ds_write2_b32 v103, v82, v83 offset0:38 offset1:136
	;; [unrolled: 1-line block ×3, first 2 shown]
	v_mul_f16_sdwa v81, v86, v94 dst_sel:DWORD dst_unused:UNUSED_PAD src0_sel:DWORD src1_sel:WORD_1
	v_fma_f16 v80, v86, v94, -v118
	v_fma_f16 v81, v119, v94, v81
	v_lshrrev_b32_e32 v83, 16, v87
	v_pack_b32_f16 v82, v80, v81
	s_waitcnt vmcnt(8)
	v_mul_f16_sdwa v80, v83, v95 dst_sel:DWORD dst_unused:UNUSED_PAD src0_sel:DWORD src1_sel:WORD_1
	v_add_u32_e32 v85, 0xc00, v42
	v_fma_f16 v84, v87, v95, -v80
	ds_read2_b32 v[80:81], v85 offset0:114 offset1:212
	v_mul_f16_sdwa v86, v87, v95 dst_sel:DWORD dst_unused:UNUSED_PAD src0_sel:DWORD src1_sel:WORD_1
	v_fma_f16 v83, v83, v95, v86
	v_pack_b32_f16 v83, v84, v83
	ds_write2_b32 v105, v82, v83 offset0:46 offset1:144
	s_waitcnt lgkmcnt(1)
	v_lshrrev_b32_e32 v82, 16, v80
	s_waitcnt vmcnt(7)
	v_mul_f16_sdwa v83, v82, v96 dst_sel:DWORD dst_unused:UNUSED_PAD src0_sel:DWORD src1_sel:WORD_1
	v_fma_f16 v83, v80, v96, -v83
	v_mul_f16_sdwa v80, v80, v96 dst_sel:DWORD dst_unused:UNUSED_PAD src0_sel:DWORD src1_sel:WORD_1
	v_lshrrev_b32_e32 v84, 16, v81
	v_fma_f16 v80, v82, v96, v80
	s_waitcnt vmcnt(1)
	v_mul_f16_sdwa v82, v84, v102 dst_sel:DWORD dst_unused:UNUSED_PAD src0_sel:DWORD src1_sel:WORD_1
	v_add_u32_e32 v87, 0x1000, v42
	v_pack_b32_f16 v80, v83, v80
	v_fma_f16 v86, v81, v102, -v82
	ds_read2_b32 v[82:83], v87 offset0:54 offset1:152
	v_mul_f16_sdwa v81, v81, v102 dst_sel:DWORD dst_unused:UNUSED_PAD src0_sel:DWORD src1_sel:WORD_1
	v_fma_f16 v81, v84, v102, v81
	v_pack_b32_f16 v81, v86, v81
	ds_write2_b32 v85, v80, v81 offset0:114 offset1:212
	s_waitcnt lgkmcnt(1)
	v_lshrrev_b32_e32 v80, 16, v82
	v_mul_f16_sdwa v81, v80, v97 dst_sel:DWORD dst_unused:UNUSED_PAD src0_sel:DWORD src1_sel:WORD_1
	v_fma_f16 v81, v82, v97, -v81
	v_mul_f16_sdwa v82, v82, v97 dst_sel:DWORD dst_unused:UNUSED_PAD src0_sel:DWORD src1_sel:WORD_1
	v_fma_f16 v80, v80, v97, v82
	v_lshrrev_b32_e32 v84, 16, v83
	v_pack_b32_f16 v82, v81, v80
	v_mul_f16_sdwa v80, v84, v98 dst_sel:DWORD dst_unused:UNUSED_PAD src0_sel:DWORD src1_sel:WORD_1
	v_add_u32_e32 v86, 0x1200, v42
	v_fma_f16 v85, v83, v98, -v80
	ds_read2_b32 v[80:81], v86 offset0:122 offset1:220
	v_mul_f16_sdwa v83, v83, v98 dst_sel:DWORD dst_unused:UNUSED_PAD src0_sel:DWORD src1_sel:WORD_1
	v_fma_f16 v83, v84, v98, v83
	v_pack_b32_f16 v83, v85, v83
	ds_write2_b32 v87, v82, v83 offset0:54 offset1:152
	s_waitcnt lgkmcnt(1)
	v_lshrrev_b32_e32 v82, 16, v80
	v_mul_f16_sdwa v83, v82, v99 dst_sel:DWORD dst_unused:UNUSED_PAD src0_sel:DWORD src1_sel:WORD_1
	v_fma_f16 v83, v80, v99, -v83
	v_mul_f16_sdwa v80, v80, v99 dst_sel:DWORD dst_unused:UNUSED_PAD src0_sel:DWORD src1_sel:WORD_1
	v_lshrrev_b32_e32 v84, 16, v81
	v_fma_f16 v80, v82, v99, v80
	v_mul_f16_sdwa v82, v84, v100 dst_sel:DWORD dst_unused:UNUSED_PAD src0_sel:DWORD src1_sel:WORD_1
	v_add_u32_e32 v87, 0x1600, v42
	v_pack_b32_f16 v80, v83, v80
	v_fma_f16 v85, v81, v100, -v82
	ds_read2_b32 v[82:83], v87 offset0:62 offset1:160
	v_mul_f16_sdwa v81, v81, v100 dst_sel:DWORD dst_unused:UNUSED_PAD src0_sel:DWORD src1_sel:WORD_1
	v_fma_f16 v81, v84, v100, v81
	v_pack_b32_f16 v81, v85, v81
	ds_write2_b32 v86, v80, v81 offset0:122 offset1:220
	s_waitcnt lgkmcnt(1)
	v_lshrrev_b32_e32 v80, 16, v82
	v_mul_f16_sdwa v81, v80, v101 dst_sel:DWORD dst_unused:UNUSED_PAD src0_sel:DWORD src1_sel:WORD_1
	v_fma_f16 v81, v82, v101, -v81
	v_mul_f16_sdwa v82, v82, v101 dst_sel:DWORD dst_unused:UNUSED_PAD src0_sel:DWORD src1_sel:WORD_1
	v_fma_f16 v80, v80, v101, v82
	v_pack_b32_f16 v80, v81, v80
	v_lshrrev_b32_e32 v81, 16, v83
	s_waitcnt vmcnt(0)
	v_mul_f16_sdwa v82, v81, v106 dst_sel:DWORD dst_unused:UNUSED_PAD src0_sel:DWORD src1_sel:WORD_1
	v_fma_f16 v82, v83, v106, -v82
	v_mul_f16_sdwa v83, v83, v106 dst_sel:DWORD dst_unused:UNUSED_PAD src0_sel:DWORD src1_sel:WORD_1
	v_fma_f16 v81, v81, v106, v83
	v_pack_b32_f16 v81, v82, v81
	ds_write2_b32 v87, v80, v81 offset0:62 offset1:160
.LBB0_9:
	s_or_b64 exec, exec, s[2:3]
	s_waitcnt lgkmcnt(0)
	s_barrier
	s_and_saveexec_b64 s[2:3], s[0:1]
	s_cbranch_execz .LBB0_11
; %bb.10:
	v_add_u32_e32 v17, 0x200, v44
	ds_read2_b32 v[29:30], v17 offset0:68 offset1:166
	v_add_u32_e32 v17, 0x400, v44
	ds_read2_b32 v[31:32], v17 offset0:136 offset1:234
	;; [unrolled: 2-line block ×6, first 2 shown]
	v_add_u32_e32 v17, 0x1400, v44
	ds_read2_b32 v[27:28], v44 offset1:98
	ds_read2_b32 v[17:18], v17 offset0:92 offset1:190
	ds_read_b32 v46, v44 offset:6272
	s_waitcnt lgkmcnt(8)
	v_lshrrev_b32_e32 v68, 16, v29
	v_lshrrev_b32_e32 v69, 16, v30
	s_waitcnt lgkmcnt(2)
	v_lshrrev_b32_e32 v66, 16, v27
	v_lshrrev_b32_e32 v67, 16, v28
	;; [unrolled: 1-line block ×12, first 2 shown]
	s_waitcnt lgkmcnt(1)
	v_lshrrev_b32_e32 v48, 16, v17
	v_lshrrev_b32_e32 v47, 16, v18
	s_waitcnt lgkmcnt(0)
	v_lshrrev_b32_e32 v49, 16, v46
.LBB0_11:
	s_or_b64 exec, exec, s[2:3]
	s_barrier
	s_and_saveexec_b64 s[2:3], s[0:1]
	s_cbranch_execz .LBB0_13
; %bb.12:
	v_sub_f16_e32 v80, v28, v46
	v_mul_f16_e32 v115, 0xbbf7, v80
	v_add_f16_e32 v101, v49, v67
	s_movk_i32 s5, 0x2de8
	v_sub_f16_e32 v82, v29, v18
	v_fma_f16 v81, v101, s5, v115
	v_mul_f16_e32 v116, 0xb1e1, v82
	v_add_f16_e32 v103, v47, v68
	s_mov_b32 s4, 0xbbdd
	v_add_f16_e32 v81, v66, v81
	v_fma_f16 v83, v103, s4, v116
	v_add_f16_e32 v81, v83, v81
	v_sub_f16_e32 v83, v30, v17
	v_mul_f16_e32 v117, 0x3bb2, v83
	v_add_f16_e32 v104, v48, v69
	s_mov_b32 s15, 0xb461
	v_fma_f16 v84, v104, s15, v117
	v_add_f16_e32 v81, v84, v81
	v_sub_f16_e32 v84, v31, v40
	v_mul_f16_e32 v118, 0x35c8, v84
	v_add_f16_e32 v105, v79, v70
	s_movk_i32 s17, 0x3b76
	v_fma_f16 v85, v105, s17, v118
	v_add_f16_e32 v81, v85, v81
	v_sub_f16_e32 v85, v32, v39
	v_mul_f16_e32 v119, 0xbb29, v85
	v_add_f16_e32 v106, v78, v71
	s_movk_i32 s19, 0x3722
	v_fma_f16 v86, v106, s19, v119
	v_add_f16_e32 v81, v86, v81
	v_sub_f16_e32 v86, v33, v38
	v_mul_f16_e32 v120, 0xb836, v86
	v_add_f16_e32 v107, v77, v72
	s_mov_b32 s18, 0xbacd
	v_fma_f16 v87, v107, s18, v120
	v_add_f16_e32 v81, v87, v81
	v_sub_f16_e32 v87, v34, v37
	v_mul_f16_e32 v121, 0x3a62, v87
	v_add_f16_e32 v108, v76, v73
	s_mov_b32 s20, 0xb8d2
	v_fma_f16 v88, v108, s20, v121
	v_add_f16_e32 v81, v88, v81
	v_sub_f16_e32 v88, v35, v36
	v_mul_f16_e32 v122, 0x3964, v88
	v_add_f16_e32 v110, v75, v74
	s_movk_i32 s23, 0x39e9
	v_fma_f16 v89, v110, s23, v122
	v_sub_f16_e32 v111, v67, v49
	v_add_f16_e32 v81, v89, v81
	v_add_f16_e32 v89, v46, v28
	v_mul_f16_e32 v123, 0xbbf7, v111
	v_fma_f16 v90, v89, s5, -v123
	v_sub_f16_e32 v112, v68, v47
	v_add_f16_e32 v91, v27, v90
	v_add_f16_e32 v90, v18, v29
	v_mul_f16_e32 v124, 0xb1e1, v112
	v_fma_f16 v92, v90, s4, -v124
	;; [unrolled: 5-line block ×8, first 2 shown]
	v_mul_f16_e32 v135, 0xbbb2, v80
	v_fma_f16 v115, v101, s5, -v115
	v_add_f16_e32 v91, v98, v91
	v_fma_f16 v98, v101, s15, v135
	v_mul_f16_e32 v136, 0x3836, v82
	v_add_f16_e32 v115, v66, v115
	v_fma_f16 v116, v103, s4, -v116
	v_add_f16_e32 v98, v66, v98
	v_fma_f16 v99, v103, s18, v136
	v_mul_f16_e32 v137, 0x3964, v83
	v_add_f16_e32 v115, v116, v115
	;; [unrolled: 5-line block ×8, first 2 shown]
	v_fma_f16 v116, v89, s5, v123
	v_add_f16_e32 v98, v99, v98
	v_fma_f16 v99, v89, s15, -v143
	v_mul_f16_e32 v144, 0x3836, v112
	v_add_f16_e32 v116, v27, v116
	v_fma_f16 v117, v90, s4, v124
	v_add_f16_e32 v99, v27, v99
	v_fma_f16 v100, v90, s18, -v144
	v_mul_f16_e32 v145, 0x3964, v113
	v_add_f16_e32 v116, v117, v116
	;; [unrolled: 5-line block ×7, first 2 shown]
	v_fma_f16 v117, v97, s23, v134
	v_add_f16_e32 v99, v100, v99
	v_fma_f16 v100, v97, s20, -v150
	v_mul_f16_e32 v151, 0xba62, v80
	s_movk_i32 s34, 0x3b29
	v_add_f16_e32 v116, v117, v116
	v_mul_f16_e32 v117, 0x3722, v101
	s_movk_i32 s33, 0x3a62
	v_add_f16_e32 v99, v100, v99
	v_fma_f16 v100, v101, s20, v151
	v_mul_f16_e32 v152, 0x3bb2, v82
	v_fma_f16 v118, v80, s34, v117
	v_mul_f16_e32 v119, 0xb8d2, v103
	v_add_f16_e32 v100, v66, v100
	v_fma_f16 v102, v103, s15, v152
	v_mul_f16_e32 v153, 0xb5c8, v83
	v_add_f16_e32 v118, v66, v118
	v_fma_f16 v120, v82, s33, v119
	s_mov_b32 s14, 0xb1e1
	v_add_f16_e32 v100, v102, v100
	v_fma_f16 v102, v104, s17, v153
	v_mul_f16_e32 v154, 0xb836, v84
	v_add_f16_e32 v118, v120, v118
	v_mul_f16_e32 v120, 0xbbdd, v104
	v_add_f16_e32 v100, v102, v100
	v_fma_f16 v102, v105, s18, v154
	v_mul_f16_e32 v155, 0x3bf7, v85
	v_fma_f16 v121, v83, s14, v120
	s_mov_b32 s26, 0xbbb2
	v_add_f16_e32 v100, v102, v100
	v_fma_f16 v102, v106, s5, v155
	v_mul_f16_e32 v156, 0xb964, v86
	v_fma_f16 v135, v101, s15, -v135
	v_add_f16_e32 v118, v121, v118
	v_mul_f16_e32 v121, 0xb461, v105
	v_add_f16_e32 v100, v102, v100
	v_fma_f16 v102, v107, s23, v156
	v_mul_f16_e32 v157, 0xb1e1, v87
	v_add_f16_e32 v135, v66, v135
	v_fma_f16 v136, v103, s18, -v136
	v_fma_f16 v122, v84, s26, v121
	s_mov_b32 s31, 0xb964
	v_add_f16_e32 v100, v102, v100
	v_fma_f16 v102, v108, s4, v157
	v_mul_f16_e32 v158, 0x3b29, v88
	v_add_f16_e32 v135, v136, v135
	v_fma_f16 v136, v104, s23, -v137
	v_add_f16_e32 v118, v122, v118
	v_mul_f16_e32 v122, 0x39e9, v106
	v_add_f16_e32 v100, v102, v100
	v_fma_f16 v102, v110, s19, v158
	v_mul_f16_e32 v159, 0xba62, v111
	v_add_f16_e32 v135, v136, v135
	v_fma_f16 v136, v105, s19, -v138
	v_fma_f16 v123, v85, s31, v122
	s_movk_i32 s25, 0x35c8
	v_add_f16_e32 v100, v102, v100
	v_fma_f16 v102, v89, s20, -v159
	v_mul_f16_e32 v160, 0x3bb2, v112
	v_add_f16_e32 v135, v136, v135
	v_fma_f16 v136, v106, s4, -v139
	v_add_f16_e32 v118, v123, v118
	v_mul_f16_e32 v123, 0x3b76, v107
	v_add_f16_e32 v102, v27, v102
	v_fma_f16 v109, v90, s15, -v160
	v_mul_f16_e32 v161, 0xb5c8, v113
	v_add_f16_e32 v135, v136, v135
	v_fma_f16 v136, v107, s5, -v140
	v_fma_f16 v124, v86, s25, v123
	s_movk_i32 s35, 0x3bf7
	v_add_f16_e32 v102, v109, v102
	v_fma_f16 v109, v92, s17, -v161
	v_mul_f16_e32 v162, 0xb836, v114
	v_add_f16_e32 v135, v136, v135
	v_fma_f16 v136, v108, s17, -v141
	v_add_f16_e32 v118, v124, v118
	v_mul_f16_e32 v124, 0x2de8, v108
	v_add_f16_e32 v102, v109, v102
	v_fma_f16 v109, v93, s18, -v162
	v_mul_f16_e32 v163, 0x3bf7, v127
	v_add_f16_e32 v135, v136, v135
	v_fma_f16 v136, v110, s20, -v142
	v_fma_f16 v125, v87, s35, v124
	s_movk_i32 s30, 0x3836
	v_add_f16_e32 v102, v109, v102
	v_fma_f16 v109, v94, s5, -v163
	v_mul_f16_e32 v164, 0xb964, v129
	v_add_f16_e32 v135, v136, v135
	v_fma_f16 v136, v89, s15, v143
	v_add_f16_e32 v118, v125, v118
	v_mul_f16_e32 v125, 0xbacd, v110
	v_add_f16_e32 v102, v109, v102
	v_fma_f16 v109, v95, s23, -v164
	v_mul_f16_e32 v165, 0xb1e1, v131
	v_add_f16_e32 v136, v27, v136
	v_fma_f16 v137, v90, s18, v144
	v_fma_f16 v126, v88, s30, v125
	v_add_f16_e32 v102, v109, v102
	v_fma_f16 v109, v96, s4, -v165
	v_mul_f16_e32 v166, 0x3b29, v133
	v_add_f16_e32 v136, v137, v136
	v_fma_f16 v137, v92, s23, v145
	v_add_f16_e32 v118, v126, v118
	v_mul_f16_e32 v126, 0xbb29, v111
	v_add_f16_e32 v102, v109, v102
	v_fma_f16 v109, v97, s19, -v166
	v_mul_f16_e32 v167, 0xb836, v80
	v_add_f16_e32 v136, v137, v136
	v_fma_f16 v137, v93, s19, v146
	v_fma_f16 v128, v89, s19, v126
	v_mul_f16_e32 v130, 0xba62, v112
	v_add_f16_e32 v28, v28, v27
	v_add_f16_e32 v102, v109, v102
	v_fma_f16 v109, v101, s18, v167
	v_mul_f16_e32 v168, 0x3b29, v82
	v_add_f16_e32 v136, v137, v136
	v_fma_f16 v137, v94, s4, v147
	v_add_f16_e32 v128, v27, v128
	v_fma_f16 v132, v90, s20, v130
	v_add_f16_e32 v28, v29, v28
	v_add_f16_e32 v109, v66, v109
	v_fma_f16 v169, v103, s19, v168
	v_add_f16_e32 v136, v137, v136
	v_fma_f16 v137, v95, s5, v148
	v_add_f16_e32 v128, v132, v128
	v_mul_f16_e32 v132, 0x31e1, v113
	v_add_f16_e32 v28, v30, v28
	v_add_f16_e32 v109, v169, v109
	v_mul_f16_e32 v169, 0xbbf7, v83
	v_add_f16_e32 v136, v137, v136
	v_fma_f16 v137, v96, s17, v149
	v_fma_f16 v134, v92, s4, v132
	v_add_f16_e32 v28, v31, v28
	v_fma_f16 v170, v104, s5, v169
	v_add_f16_e32 v136, v137, v136
	;; [unrolled: 2-line block ×3, first 2 shown]
	v_mul_f16_e32 v134, 0x3bb2, v114
	v_add_f16_e32 v28, v32, v28
	v_add_f16_e32 v109, v170, v109
	v_mul_f16_e32 v170, 0x3a62, v84
	v_add_f16_e32 v136, v137, v136
	v_fma_f16 v137, v93, s15, v134
	v_add_f16_e32 v28, v33, v28
	v_fma_f16 v171, v105, s20, v170
	v_add_f16_e32 v128, v137, v128
	v_mul_f16_e32 v137, 0x3964, v127
	v_add_f16_e32 v28, v34, v28
	v_add_f16_e32 v109, v171, v109
	v_mul_f16_e32 v171, 0xb5c8, v85
	v_fma_f16 v138, v94, s23, v137
	v_add_f16_e32 v28, v35, v28
	v_fma_f16 v172, v106, s17, v171
	v_add_f16_e32 v128, v138, v128
	v_mul_f16_e32 v138, 0xb5c8, v129
	v_add_f16_e32 v28, v36, v28
	v_add_f16_e32 v109, v172, v109
	v_mul_f16_e32 v172, 0xb1e1, v86
	;; [unrolled: 8-line block ×3, first 2 shown]
	v_fma_f16 v140, v96, s5, v139
	v_add_f16_e32 v28, v39, v28
	s_mov_b32 s22, 0xbb29
	v_fma_f16 v174, v108, s23, v173
	v_add_f16_e32 v128, v140, v128
	v_mul_f16_e32 v140, 0xb836, v133
	v_add_f16_e32 v28, v40, v28
	s_mov_b32 s28, 0xba62
	v_add_f16_e32 v109, v174, v109
	v_mul_f16_e32 v174, 0xbbb2, v88
	v_fma_f16 v141, v97, s18, v140
	v_add_f16_e32 v17, v17, v28
	v_fma_f16 v28, v80, s22, v117
	s_movk_i32 s27, 0x3964
	v_fma_f16 v175, v110, s15, v174
	v_fma_f16 v151, v101, s20, -v151
	s_movk_i32 s36, 0x31e1
	v_add_f16_e32 v128, v141, v128
	v_mul_f16_e32 v141, 0x39e9, v101
	v_add_f16_e32 v28, v66, v28
	v_fma_f16 v29, v82, s28, v119
	s_movk_i32 s24, 0x3bb2
	v_add_f16_e32 v109, v175, v109
	v_mul_f16_e32 v175, 0xb836, v111
	v_add_f16_e32 v151, v66, v151
	v_fma_f16 v152, v103, s15, -v152
	v_fma_f16 v142, v80, s27, v141
	v_mul_f16_e32 v143, 0x2de8, v103
	v_add_f16_e32 v28, v29, v28
	v_fma_f16 v29, v83, s36, v120
	v_fma_f16 v176, v89, s18, -v175
	v_mul_f16_e32 v177, 0x3b29, v112
	v_add_f16_e32 v151, v152, v151
	v_fma_f16 v152, v104, s17, -v153
	v_add_f16_e32 v142, v66, v142
	v_fma_f16 v144, v82, s35, v143
	v_add_f16_e32 v28, v29, v28
	v_fma_f16 v29, v84, s24, v121
	s_mov_b32 s29, 0xb5c8
	v_add_f16_e32 v176, v27, v176
	v_fma_f16 v178, v90, s19, -v177
	v_add_f16_e32 v151, v152, v151
	v_fma_f16 v152, v105, s18, -v154
	v_add_f16_e32 v142, v144, v142
	v_mul_f16_e32 v144, 0xb8d2, v104
	v_add_f16_e32 v28, v29, v28
	v_fma_f16 v29, v85, s27, v122
	s_mov_b32 s16, 0xbbf7
	v_add_f16_e32 v176, v178, v176
	v_mul_f16_e32 v178, 0xbbf7, v113
	v_add_f16_e32 v151, v152, v151
	v_fma_f16 v152, v106, s5, -v155
	v_fma_f16 v145, v83, s33, v144
	v_add_f16_e32 v28, v29, v28
	v_fma_f16 v29, v86, s29, v123
	s_mov_b32 s21, 0xb836
	v_fma_f16 v179, v92, s5, -v178
	v_add_f16_e32 v151, v152, v151
	v_fma_f16 v152, v107, s23, -v156
	v_add_f16_e32 v142, v145, v142
	v_mul_f16_e32 v145, 0xbbdd, v105
	v_add_f16_e32 v28, v29, v28
	v_fma_f16 v29, v87, s16, v124
	v_add_f16_e32 v176, v179, v176
	v_mul_f16_e32 v179, 0x3a62, v114
	v_add_f16_e32 v151, v152, v151
	v_fma_f16 v152, v108, s4, -v157
	v_fma_f16 v146, v84, s36, v145
	v_add_f16_e32 v28, v29, v28
	v_fma_f16 v29, v88, s21, v125
	v_fma_f16 v180, v93, s20, -v179
	v_add_f16_e32 v151, v152, v151
	v_fma_f16 v152, v110, s19, -v158
	v_add_f16_e32 v142, v146, v142
	v_mul_f16_e32 v146, 0xbacd, v106
	v_add_f16_e32 v28, v29, v28
	v_fma_f16 v29, v89, s19, -v126
	v_add_f16_e32 v176, v180, v176
	v_mul_f16_e32 v180, 0xb5c8, v127
	v_add_f16_e32 v151, v152, v151
	v_fma_f16 v152, v89, s20, v159
	v_fma_f16 v147, v85, s21, v146
	v_add_f16_e32 v29, v27, v29
	v_fma_f16 v30, v90, s20, -v130
	v_fma_f16 v181, v94, s17, -v180
	v_add_f16_e32 v152, v27, v152
	v_fma_f16 v153, v90, s15, v160
	v_add_f16_e32 v142, v147, v142
	v_mul_f16_e32 v147, 0xb461, v107
	v_add_f16_e32 v29, v30, v29
	v_fma_f16 v30, v92, s4, -v132
	v_add_f16_e32 v176, v181, v176
	v_mul_f16_e32 v181, 0xb1e1, v129
	v_add_f16_e32 v152, v153, v152
	v_fma_f16 v153, v92, s17, v161
	v_fma_f16 v148, v86, s26, v147
	v_add_f16_e32 v29, v30, v29
	v_fma_f16 v30, v93, s15, -v134
	v_fma_f16 v182, v95, s4, -v181
	v_add_f16_e32 v152, v153, v152
	v_fma_f16 v153, v93, s18, v162
	;; [unrolled: 14-line block ×4, first 2 shown]
	v_add_f16_e32 v142, v150, v142
	v_mul_f16_e32 v150, 0xb964, v111
	v_add_f16_e32 v29, v30, v29
	v_fma_f16 v30, v80, s31, v141
	v_add_f16_e32 v176, v184, v176
	v_mul_f16_e32 v184, 0xb1e1, v80
	v_add_f16_e32 v152, v153, v152
	v_fma_f16 v153, v89, s23, v150
	v_mul_f16_e32 v154, 0xbbf7, v112
	v_add_f16_e32 v30, v66, v30
	v_fma_f16 v31, v82, s16, v143
	v_fma_f16 v185, v101, s4, v184
	v_mul_f16_e32 v186, 0x35c8, v82
	v_add_f16_e32 v153, v27, v153
	v_fma_f16 v155, v90, s5, v154
	v_add_f16_e32 v30, v31, v30
	v_fma_f16 v31, v83, s28, v144
	;; [unrolled: 2-line block ×3, first 2 shown]
	v_add_f16_e32 v153, v155, v153
	v_mul_f16_e32 v155, 0xba62, v113
	v_add_f16_e32 v30, v31, v30
	v_fma_f16 v31, v84, s14, v145
	v_add_f16_e32 v185, v187, v185
	v_mul_f16_e32 v187, 0xb836, v83
	v_fma_f16 v156, v92, s20, v155
	v_add_f16_e32 v30, v31, v30
	v_fma_f16 v31, v85, s30, v146
	v_fma_f16 v188, v104, s18, v187
	v_add_f16_e32 v153, v156, v153
	v_mul_f16_e32 v156, 0xb1e1, v114
	v_add_f16_e32 v30, v31, v30
	v_fma_f16 v31, v86, s24, v147
	v_add_f16_e32 v185, v188, v185
	v_mul_f16_e32 v188, 0x3964, v84
	v_fma_f16 v157, v93, s4, v156
	v_add_f16_e32 v30, v31, v30
	v_fma_f16 v31, v87, s34, v148
	v_fma_f16 v189, v105, s23, v188
	v_add_f16_e32 v153, v157, v153
	v_mul_f16_e32 v157, 0x3836, v127
	v_add_f16_e32 v30, v31, v30
	v_fma_f16 v31, v88, s25, v149
	v_add_f16_e32 v185, v189, v185
	v_mul_f16_e32 v189, 0xba62, v85
	v_fma_f16 v158, v94, s18, v157
	v_add_f16_e32 v30, v31, v30
	v_fma_f16 v31, v89, s23, -v150
	v_fma_f16 v190, v106, s20, v189
	v_add_f16_e32 v153, v158, v153
	v_mul_f16_e32 v158, 0x3bb2, v129
	v_add_f16_e32 v31, v27, v31
	v_fma_f16 v32, v90, s5, -v154
	v_add_f16_e32 v185, v190, v185
	v_mul_f16_e32 v190, 0x3b29, v86
	v_fma_f16 v159, v95, s15, v158
	v_add_f16_e32 v31, v32, v31
	v_fma_f16 v32, v92, s20, -v155
	v_fma_f16 v191, v107, s19, v190
	v_add_f16_e32 v153, v159, v153
	v_mul_f16_e32 v159, 0x3b29, v131
	v_add_f16_e32 v31, v32, v31
	v_fma_f16 v32, v93, s4, -v156
	v_add_f16_e32 v185, v191, v185
	v_mul_f16_e32 v191, 0xbbb2, v87
	v_fma_f16 v160, v96, s19, v159
	v_add_f16_e32 v31, v32, v31
	v_fma_f16 v32, v94, s18, -v157
	v_fma_f16 v192, v108, s15, v191
	v_add_f16_e32 v153, v160, v153
	v_mul_f16_e32 v160, 0x35c8, v133
	v_add_f16_e32 v31, v32, v31
	v_fma_f16 v32, v95, s15, -v158
	v_add_f16_e32 v185, v192, v185
	v_mul_f16_e32 v192, 0x3bf7, v88
	v_fma_f16 v184, v101, s4, -v184
	v_fma_f16 v167, v101, s18, -v167
	v_fma_f16 v161, v97, s17, v160
	v_mul_f16_e32 v101, 0x3b76, v101
	v_add_f16_e32 v31, v32, v31
	v_fma_f16 v32, v96, s19, -v159
	v_fma_f16 v193, v110, s5, v192
	v_add_f16_e32 v184, v66, v184
	v_fma_f16 v186, v103, s17, -v186
	v_add_f16_e32 v167, v66, v167
	v_fma_f16 v168, v103, s19, -v168
	v_add_f16_e32 v153, v161, v153
	v_fma_f16 v161, v80, s25, v101
	v_mul_f16_e32 v103, 0x39e9, v103
	v_add_f16_e32 v31, v32, v31
	v_fma_f16 v32, v97, s17, -v160
	v_add_f16_e32 v185, v193, v185
	v_mul_f16_e32 v193, 0xb1e1, v111
	v_add_f16_e32 v184, v186, v184
	v_fma_f16 v186, v104, s18, -v187
	v_add_f16_e32 v167, v168, v167
	v_fma_f16 v168, v104, s5, -v169
	v_add_f16_e32 v161, v66, v161
	v_fma_f16 v162, v82, s27, v103
	v_mul_f16_e32 v104, 0x3722, v104
	v_add_f16_e32 v17, v18, v17
	v_add_f16_e32 v18, v67, v66
	;; [unrolled: 1-line block ×3, first 2 shown]
	v_fma_f16 v32, v80, s29, v101
	v_fma_f16 v194, v89, s4, -v193
	v_mul_f16_e32 v195, 0x35c8, v112
	v_add_f16_e32 v184, v186, v184
	v_fma_f16 v186, v105, s23, -v188
	v_add_f16_e32 v167, v168, v167
	v_fma_f16 v168, v105, s20, -v170
	v_add_f16_e32 v161, v162, v161
	v_fma_f16 v162, v83, s34, v104
	v_mul_f16_e32 v105, 0x2de8, v105
	v_add_f16_e32 v18, v68, v18
	v_add_f16_e32 v32, v66, v32
	v_fma_f16 v33, v82, s31, v103
	v_add_f16_e32 v194, v27, v194
	v_fma_f16 v196, v90, s17, -v195
	v_add_f16_e32 v184, v186, v184
	v_fma_f16 v186, v106, s20, -v189
	v_add_f16_e32 v167, v168, v167
	v_fma_f16 v168, v106, s17, -v171
	v_add_f16_e32 v161, v162, v161
	v_fma_f16 v162, v84, s35, v105
	v_mul_f16_e32 v106, 0xb461, v106
	v_add_f16_e32 v18, v69, v18
	v_add_f16_e32 v32, v33, v32
	v_fma_f16 v33, v83, s22, v104
	v_add_f16_e32 v194, v196, v194
	v_mul_f16_e32 v196, 0xb836, v113
	v_add_f16_e32 v184, v186, v184
	v_fma_f16 v186, v107, s19, -v190
	v_add_f16_e32 v167, v168, v167
	v_fma_f16 v168, v107, s4, -v172
	v_add_f16_e32 v161, v162, v161
	v_fma_f16 v162, v85, s24, v106
	v_mul_f16_e32 v107, 0xb8d2, v107
	v_add_f16_e32 v18, v70, v18
	v_add_f16_e32 v32, v33, v32
	v_fma_f16 v33, v84, s16, v105
	v_fma_f16 v197, v92, s18, -v196
	v_add_f16_e32 v184, v186, v184
	v_fma_f16 v186, v108, s15, -v191
	v_add_f16_e32 v167, v168, v167
	;; [unrolled: 2-line block ×3, first 2 shown]
	v_fma_f16 v162, v86, s33, v107
	v_mul_f16_e32 v108, 0xbacd, v108
	v_add_f16_e32 v18, v71, v18
	v_add_f16_e32 v32, v33, v32
	v_fma_f16 v33, v85, s26, v106
	v_add_f16_e32 v194, v197, v194
	v_mul_f16_e32 v197, 0x3964, v114
	v_add_f16_e32 v184, v186, v184
	v_fma_f16 v186, v110, s5, -v192
	v_add_f16_e32 v167, v168, v167
	v_fma_f16 v168, v110, s15, -v174
	v_add_f16_e32 v161, v162, v161
	v_fma_f16 v162, v87, s30, v108
	v_mul_f16_e32 v110, 0xbbdd, v110
	v_add_f16_e32 v18, v72, v18
	v_add_f16_e32 v32, v33, v32
	v_fma_f16 v33, v86, s28, v107
	v_fma_f16 v198, v93, s23, -v197
	v_add_f16_e32 v161, v162, v161
	v_fma_f16 v162, v88, s36, v110
	v_mul_f16_e32 v111, 0xb5c8, v111
	v_add_f16_e32 v18, v73, v18
	v_add_f16_e32 v32, v33, v32
	v_fma_f16 v33, v87, s21, v108
	v_add_f16_e32 v194, v198, v194
	v_mul_f16_e32 v198, 0xba62, v127
	v_add_f16_e32 v161, v162, v161
	v_fma_f16 v162, v89, s17, v111
	v_mul_f16_e32 v112, 0xb964, v112
	v_add_f16_e32 v18, v74, v18
	v_add_f16_e32 v32, v33, v32
	v_fma_f16 v33, v88, s14, v110
	v_fma_f16 v199, v94, s20, -v198
	v_add_f16_e32 v184, v186, v184
	v_fma_f16 v186, v89, s4, v193
	v_add_f16_e32 v167, v168, v167
	v_fma_f16 v168, v89, s18, v175
	;; [unrolled: 2-line block ×3, first 2 shown]
	v_mul_f16_e32 v113, 0xbb29, v113
	v_add_f16_e32 v18, v75, v18
	v_add_f16_e32 v32, v33, v32
	v_fma_f16 v33, v89, s17, -v111
	v_add_f16_e32 v194, v199, v194
	v_mul_f16_e32 v199, 0x3b29, v129
	v_add_f16_e32 v186, v27, v186
	v_add_f16_e32 v168, v27, v168
	;; [unrolled: 1-line block ×3, first 2 shown]
	v_fma_f16 v163, v92, s19, v113
	v_mul_f16_e32 v114, 0xbbf7, v114
	v_add_f16_e32 v18, v76, v18
	v_add_f16_e32 v27, v27, v33
	v_fma_f16 v33, v90, s23, -v112
	v_fma_f16 v200, v95, s19, -v199
	v_add_f16_e32 v162, v163, v162
	v_fma_f16 v163, v93, s5, v114
	v_mul_f16_e32 v127, 0xbbb2, v127
	v_add_f16_e32 v18, v77, v18
	v_add_f16_e32 v27, v33, v27
	v_fma_f16 v33, v92, s19, -v113
	v_add_f16_e32 v194, v200, v194
	v_mul_f16_e32 v200, 0xbbb2, v131
	v_fma_f16 v169, v90, s19, v177
	v_add_f16_e32 v162, v163, v162
	v_fma_f16 v163, v94, s15, v127
	v_mul_f16_e32 v129, 0xba62, v129
	v_add_f16_e32 v18, v78, v18
	v_add_f16_e32 v27, v33, v27
	v_fma_f16 v33, v93, s5, -v114
	v_fma_f16 v201, v96, s15, -v200
	v_fma_f16 v187, v90, s17, v195
	v_add_f16_e32 v168, v169, v168
	v_fma_f16 v169, v92, s5, v178
	v_add_f16_e32 v162, v163, v162
	v_fma_f16 v163, v95, s20, v129
	v_mul_f16_e32 v131, 0xb836, v131
	v_add_f16_e32 v18, v79, v18
	v_add_f16_e32 v27, v33, v27
	v_fma_f16 v33, v94, s15, -v127
	v_add_f16_e32 v194, v201, v194
	v_mul_f16_e32 v201, 0x3bf7, v133
	v_add_f16_e32 v186, v187, v186
	v_fma_f16 v187, v92, s18, v196
	v_add_f16_e32 v168, v169, v168
	v_fma_f16 v169, v93, s20, v179
	;; [unrolled: 2-line block ×3, first 2 shown]
	v_mul_f16_e32 v133, 0xb1e1, v133
	v_add_f16_e32 v18, v48, v18
	v_add_f16_e32 v27, v33, v27
	v_fma_f16 v33, v95, s20, -v129
	v_add_f16_e32 v186, v187, v186
	v_fma_f16 v187, v93, s23, v197
	v_add_f16_e32 v168, v169, v168
	v_fma_f16 v169, v94, s17, v180
	;; [unrolled: 2-line block ×3, first 2 shown]
	v_add_f16_e32 v18, v47, v18
	v_add_f16_e32 v27, v33, v27
	v_fma_f16 v33, v96, s18, -v131
	v_add_f16_e32 v186, v187, v186
	v_fma_f16 v187, v94, s20, v198
	v_add_f16_e32 v168, v169, v168
	v_fma_f16 v169, v95, s4, v181
	v_add_f16_e32 v162, v163, v162
	v_add_f16_e32 v17, v46, v17
	;; [unrolled: 1-line block ×4, first 2 shown]
	v_fma_f16 v33, v97, s4, -v133
	v_add_f16_e32 v186, v187, v186
	v_fma_f16 v187, v95, s19, v199
	v_add_f16_e32 v168, v169, v168
	v_fma_f16 v169, v96, s23, v182
	v_add_f16_e32 v27, v33, v27
	v_lshlrev_b32_e32 v33, 2, v45
	v_pack_b32_f16 v34, v162, v161
	v_pack_b32_f16 v17, v17, v18
	v_add_f16_e32 v186, v187, v186
	v_fma_f16 v187, v96, s15, v200
	v_add_f16_e32 v168, v169, v168
	v_fma_f16 v169, v97, s15, v183
	ds_write2_b32 v33, v17, v34 offset1:1
	v_pack_b32_f16 v17, v128, v118
	v_pack_b32_f16 v18, v153, v142
	v_fma_f16 v202, v97, s5, -v201
	v_add_f16_e32 v186, v187, v186
	v_fma_f16 v187, v97, s5, v201
	v_add_f16_e32 v168, v169, v168
	ds_write2_b32 v33, v18, v17 offset0:2 offset1:3
	v_pack_b32_f16 v17, v136, v135
	v_pack_b32_f16 v18, v116, v115
	v_add_f16_e32 v194, v202, v194
	v_add_f16_e32 v186, v187, v186
	ds_write2_b32 v33, v18, v17 offset0:4 offset1:5
	v_pack_b32_f16 v17, v168, v167
	v_pack_b32_f16 v18, v152, v151
	ds_write2_b32 v33, v18, v17 offset0:6 offset1:7
	v_pack_b32_f16 v17, v194, v185
	v_pack_b32_f16 v18, v186, v184
	;; [unrolled: 3-line block ×5, first 2 shown]
	ds_write2_b32 v33, v18, v17 offset0:14 offset1:15
	v_pack_b32_f16 v17, v27, v32
	ds_write_b32 v33, v17 offset:64
.LBB0_13:
	s_or_b64 exec, exec, s[2:3]
	v_add_u32_e32 v17, 0xa00, v44
	s_waitcnt lgkmcnt(0)
	s_barrier
	ds_read2_b32 v[33:34], v17 offset0:74 offset1:193
	v_add_u32_e32 v18, 0xe00, v44
	ds_read2_b32 v[35:36], v18 offset0:56 offset1:175
	v_add_u32_e32 v28, 0x1200, v44
	ds_read2_b32 v[39:40], v28 offset0:38 offset1:157
	s_waitcnt lgkmcnt(2)
	v_lshrrev_b32_e32 v66, 16, v34
	v_mul_f16_sdwa v79, v50, v66 dst_sel:DWORD dst_unused:UNUSED_PAD src0_sel:WORD_1 src1_sel:DWORD
	s_waitcnt lgkmcnt(1)
	v_lshrrev_b32_e32 v68, 16, v35
	v_fma_f16 v79, v50, v34, v79
	v_mul_f16_sdwa v34, v50, v34 dst_sel:DWORD dst_unused:UNUSED_PAD src0_sel:WORD_1 src1_sel:DWORD
	v_fma_f16 v34, v50, v66, -v34
	v_mul_f16_sdwa v50, v51, v68 dst_sel:DWORD dst_unused:UNUSED_PAD src0_sel:WORD_1 src1_sel:DWORD
	v_lshrrev_b32_e32 v70, 16, v36
	v_add_u32_e32 v29, 0x1600, v44
	v_fma_f16 v50, v51, v35, v50
	v_mul_f16_sdwa v35, v51, v35 dst_sel:DWORD dst_unused:UNUSED_PAD src0_sel:WORD_1 src1_sel:DWORD
	ds_read2_b32 v[47:48], v29 offset0:20 offset1:139
	v_fma_f16 v35, v51, v68, -v35
	v_mul_f16_sdwa v51, v52, v70 dst_sel:DWORD dst_unused:UNUSED_PAD src0_sel:WORD_1 src1_sel:DWORD
	s_waitcnt lgkmcnt(1)
	v_lshrrev_b32_e32 v72, 16, v39
	v_fma_f16 v51, v52, v36, v51
	v_mul_f16_sdwa v36, v52, v36 dst_sel:DWORD dst_unused:UNUSED_PAD src0_sel:WORD_1 src1_sel:DWORD
	v_fma_f16 v36, v52, v70, -v36
	v_mul_f16_sdwa v52, v53, v72 dst_sel:DWORD dst_unused:UNUSED_PAD src0_sel:WORD_1 src1_sel:DWORD
	v_lshrrev_b32_e32 v74, 16, v40
	v_fma_f16 v52, v53, v39, v52
	v_mul_f16_sdwa v39, v53, v39 dst_sel:DWORD dst_unused:UNUSED_PAD src0_sel:WORD_1 src1_sel:DWORD
	ds_read2_b32 v[31:32], v44 offset1:119
	v_fma_f16 v39, v53, v72, -v39
	v_mul_f16_sdwa v53, v54, v74 dst_sel:DWORD dst_unused:UNUSED_PAD src0_sel:WORD_1 src1_sel:DWORD
	v_add_u32_e32 v27, 0x200, v44
	s_waitcnt lgkmcnt(1)
	v_lshrrev_b32_e32 v76, 16, v47
	v_fma_f16 v53, v54, v40, v53
	v_mul_f16_sdwa v40, v54, v40 dst_sel:DWORD dst_unused:UNUSED_PAD src0_sel:WORD_1 src1_sel:DWORD
	ds_read2_b32 v[37:38], v27 offset0:110 offset1:229
	v_fma_f16 v40, v54, v74, -v40
	v_mul_f16_sdwa v54, v55, v76 dst_sel:DWORD dst_unused:UNUSED_PAD src0_sel:WORD_1 src1_sel:DWORD
	v_add_u32_e32 v30, 0x600, v44
	v_lshrrev_b32_e32 v78, 16, v48
	v_fma_f16 v54, v55, v47, v54
	v_mul_f16_sdwa v47, v55, v47 dst_sel:DWORD dst_unused:UNUSED_PAD src0_sel:WORD_1 src1_sel:DWORD
	ds_read2_b32 v[45:46], v30 offset0:92 offset1:211
	v_fma_f16 v47, v55, v76, -v47
	v_mul_f16_sdwa v55, v56, v78 dst_sel:DWORD dst_unused:UNUSED_PAD src0_sel:WORD_1 src1_sel:DWORD
	s_waitcnt lgkmcnt(2)
	v_lshrrev_b32_e32 v49, 16, v31
	v_fma_f16 v55, v56, v48, v55
	v_mul_f16_sdwa v48, v56, v48 dst_sel:DWORD dst_unused:UNUSED_PAD src0_sel:WORD_1 src1_sel:DWORD
	v_lshrrev_b32_e32 v67, 16, v32
	v_fma_f16 v48, v56, v78, -v48
	v_sub_f16_e32 v56, v31, v79
	v_sub_f16_e32 v34, v49, v34
	s_waitcnt lgkmcnt(1)
	v_lshrrev_b32_e32 v69, 16, v37
	v_fma_f16 v31, v31, 2.0, -v56
	v_fma_f16 v49, v49, 2.0, -v34
	v_sub_f16_e32 v50, v32, v50
	v_sub_f16_e32 v35, v67, v35
	v_lshrrev_b32_e32 v71, 16, v38
	v_fma_f16 v32, v32, 2.0, -v50
	v_fma_f16 v66, v67, 2.0, -v35
	v_sub_f16_e32 v51, v37, v51
	v_sub_f16_e32 v36, v69, v36
	v_pack_b32_f16 v31, v31, v49
	v_pack_b32_f16 v34, v56, v34
	s_waitcnt lgkmcnt(0)
	v_lshrrev_b32_e32 v73, 16, v45
	v_fma_f16 v37, v37, 2.0, -v51
	v_fma_f16 v67, v69, 2.0, -v36
	v_sub_f16_e32 v52, v38, v52
	v_sub_f16_e32 v39, v71, v39
	s_barrier
	ds_write2_b32 v57, v31, v34 offset1:17
	v_pack_b32_f16 v31, v32, v66
	v_pack_b32_f16 v32, v50, v35
	v_lshrrev_b32_e32 v75, 16, v46
	v_fma_f16 v38, v38, 2.0, -v52
	v_fma_f16 v68, v71, 2.0, -v39
	v_sub_f16_e32 v53, v45, v53
	v_sub_f16_e32 v40, v73, v40
	ds_write2_b32 v58, v31, v32 offset1:17
	v_pack_b32_f16 v31, v37, v67
	v_pack_b32_f16 v32, v51, v36
	v_lshrrev_b32_e32 v77, 16, v33
	v_fma_f16 v45, v45, 2.0, -v53
	v_fma_f16 v69, v73, 2.0, -v40
	v_sub_f16_e32 v54, v46, v54
	v_sub_f16_e32 v47, v75, v47
	ds_write2_b32 v59, v31, v32 offset1:17
	v_pack_b32_f16 v31, v38, v68
	v_pack_b32_f16 v32, v52, v39
	v_fma_f16 v46, v46, 2.0, -v54
	v_fma_f16 v70, v75, 2.0, -v47
	v_sub_f16_e32 v55, v33, v55
	v_sub_f16_e32 v48, v77, v48
	ds_write2_b32 v60, v31, v32 offset1:17
	v_pack_b32_f16 v31, v45, v69
	v_pack_b32_f16 v32, v53, v40
	v_fma_f16 v33, v33, 2.0, -v55
	v_fma_f16 v71, v77, 2.0, -v48
	ds_write2_b32 v61, v31, v32 offset1:17
	v_pack_b32_f16 v31, v46, v70
	v_pack_b32_f16 v32, v54, v47
	ds_write2_b32 v62, v31, v32 offset1:17
	v_pack_b32_f16 v31, v33, v71
	v_pack_b32_f16 v32, v55, v48
	ds_write2_b32 v63, v31, v32 offset1:17
	s_waitcnt lgkmcnt(0)
	s_barrier
	ds_read2_b32 v[31:32], v27 offset0:110 offset1:229
	ds_read2_b32 v[33:34], v44 offset1:119
	ds_read2_b32 v[35:36], v30 offset0:92 offset1:211
	ds_read2_b32 v[37:38], v17 offset0:74 offset1:193
	;; [unrolled: 1-line block ×5, first 2 shown]
	s_waitcnt lgkmcnt(4)
	v_lshrrev_b32_e32 v50, 16, v35
	s_waitcnt lgkmcnt(3)
	v_lshrrev_b32_e32 v51, 16, v37
	v_lshrrev_b32_e32 v49, 16, v31
	v_mul_f16_sdwa v61, v0, v49 dst_sel:DWORD dst_unused:UNUSED_PAD src0_sel:WORD_1 src1_sel:DWORD
	v_fma_f16 v61, v0, v31, v61
	v_mul_f16_sdwa v31, v0, v31 dst_sel:DWORD dst_unused:UNUSED_PAD src0_sel:WORD_1 src1_sel:DWORD
	v_fma_f16 v0, v0, v49, -v31
	v_mul_f16_sdwa v31, v1, v50 dst_sel:DWORD dst_unused:UNUSED_PAD src0_sel:WORD_1 src1_sel:DWORD
	v_fma_f16 v31, v1, v35, v31
	v_mul_f16_sdwa v35, v1, v35 dst_sel:DWORD dst_unused:UNUSED_PAD src0_sel:WORD_1 src1_sel:DWORD
	v_fma_f16 v1, v1, v50, -v35
	v_mul_f16_sdwa v35, v2, v51 dst_sel:DWORD dst_unused:UNUSED_PAD src0_sel:WORD_1 src1_sel:DWORD
	s_waitcnt lgkmcnt(2)
	v_lshrrev_b32_e32 v52, 16, v39
	v_fma_f16 v35, v2, v37, v35
	v_mul_f16_sdwa v37, v2, v37 dst_sel:DWORD dst_unused:UNUSED_PAD src0_sel:WORD_1 src1_sel:DWORD
	v_fma_f16 v2, v2, v51, -v37
	v_mul_f16_sdwa v37, v3, v52 dst_sel:DWORD dst_unused:UNUSED_PAD src0_sel:WORD_1 src1_sel:DWORD
	s_waitcnt lgkmcnt(1)
	v_lshrrev_b32_e32 v53, 16, v45
	;; [unrolled: 6-line block ×3, first 2 shown]
	v_fma_f16 v39, v19, v45, v39
	v_mul_f16_sdwa v45, v19, v45 dst_sel:DWORD dst_unused:UNUSED_PAD src0_sel:WORD_1 src1_sel:DWORD
	v_fma_f16 v19, v19, v53, -v45
	v_mul_f16_sdwa v45, v20, v54 dst_sel:DWORD dst_unused:UNUSED_PAD src0_sel:WORD_1 src1_sel:DWORD
	v_lshrrev_b32_e32 v55, 16, v32
	v_fma_f16 v45, v20, v47, v45
	v_mul_f16_sdwa v47, v20, v47 dst_sel:DWORD dst_unused:UNUSED_PAD src0_sel:WORD_1 src1_sel:DWORD
	v_fma_f16 v20, v20, v54, -v47
	v_mul_f16_sdwa v47, v4, v55 dst_sel:DWORD dst_unused:UNUSED_PAD src0_sel:WORD_1 src1_sel:DWORD
	v_lshrrev_b32_e32 v56, 16, v36
	;; [unrolled: 5-line block ×6, first 2 shown]
	v_fma_f16 v40, v21, v46, v40
	v_mul_f16_sdwa v46, v21, v46 dst_sel:DWORD dst_unused:UNUSED_PAD src0_sel:WORD_1 src1_sel:DWORD
	v_fma_f16 v21, v21, v59, -v46
	v_mul_f16_sdwa v46, v22, v60 dst_sel:DWORD dst_unused:UNUSED_PAD src0_sel:WORD_1 src1_sel:DWORD
	v_fma_f16 v46, v22, v48, v46
	v_mul_f16_sdwa v48, v22, v48 dst_sel:DWORD dst_unused:UNUSED_PAD src0_sel:WORD_1 src1_sel:DWORD
	v_fma_f16 v22, v22, v60, -v48
	v_add_f16_e32 v48, v61, v45
	v_add_f16_e32 v49, v0, v20
	v_sub_f16_e32 v0, v0, v20
	v_add_f16_e32 v20, v31, v39
	v_add_f16_e32 v50, v1, v19
	v_sub_f16_e32 v45, v61, v45
	v_sub_f16_e32 v31, v31, v39
	;; [unrolled: 1-line block ×3, first 2 shown]
	v_add_f16_e32 v19, v35, v37
	v_add_f16_e32 v39, v2, v3
	v_sub_f16_e32 v35, v37, v35
	v_sub_f16_e32 v2, v3, v2
	v_add_f16_e32 v3, v20, v48
	v_add_f16_e32 v37, v50, v49
	v_sub_f16_e32 v51, v20, v48
	v_sub_f16_e32 v52, v50, v49
	;; [unrolled: 1-line block ×6, first 2 shown]
	v_add_f16_e32 v53, v35, v31
	v_add_f16_e32 v54, v2, v1
	v_sub_f16_e32 v55, v35, v31
	v_sub_f16_e32 v56, v2, v1
	;; [unrolled: 1-line block ×4, first 2 shown]
	v_add_f16_e32 v3, v19, v3
	v_add_f16_e32 v19, v39, v37
	v_sub_f16_e32 v35, v45, v35
	v_sub_f16_e32 v2, v0, v2
	v_add_f16_e32 v37, v53, v45
	v_add_f16_e32 v0, v54, v0
	;; [unrolled: 1-line block ×3, first 2 shown]
	v_add_f16_sdwa v33, v33, v19 dst_sel:DWORD dst_unused:UNUSED_PAD src0_sel:WORD_1 src1_sel:DWORD
	v_mul_f16_e32 v45, 0x3a52, v48
	v_mul_f16_e32 v48, 0x3a52, v49
	s_movk_i32 s3, 0x2b26
	v_mul_f16_e32 v49, 0x2b26, v20
	v_mul_f16_e32 v53, 0x2b26, v50
	;; [unrolled: 1-line block ×4, first 2 shown]
	s_mov_b32 s2, 0xbb00
	v_mul_f16_e32 v56, 0xbb00, v31
	v_mul_f16_e32 v57, 0xbb00, v1
	s_mov_b32 s4, 0xbcab
	s_movk_i32 s5, 0x39e0
	s_mov_b32 s15, 0xb9e0
	s_mov_b32 s16, 0xb574
	s_movk_i32 s17, 0x3574
	v_fma_f16 v3, v3, s4, v39
	v_fma_f16 v19, v19, s4, v33
	v_fma_f16 v20, v20, s3, v45
	v_fma_f16 v50, v50, s3, v48
	v_fma_f16 v49, v51, s5, -v49
	v_fma_f16 v53, v52, s5, -v53
	;; [unrolled: 1-line block ×4, first 2 shown]
	v_fma_f16 v51, v35, s16, v54
	v_fma_f16 v52, v2, s16, v55
	v_fma_f16 v1, v1, s2, -v55
	v_fma_f16 v35, v35, s17, -v56
	;; [unrolled: 1-line block ×3, first 2 shown]
	s_mov_b32 s14, 0xb70e
	v_fma_f16 v31, v31, s2, -v54
	v_add_f16_e32 v20, v20, v3
	v_add_f16_e32 v50, v50, v19
	;; [unrolled: 1-line block ×6, first 2 shown]
	v_fma_f16 v45, v37, s14, v51
	v_fma_f16 v48, v0, s14, v52
	;; [unrolled: 1-line block ×6, first 2 shown]
	v_add_f16_e32 v2, v48, v20
	v_sub_f16_e32 v37, v50, v45
	v_add_f16_e32 v51, v0, v3
	v_sub_f16_e32 v52, v19, v35
	v_sub_f16_e32 v0, v3, v0
	v_add_f16_e32 v3, v35, v19
	v_sub_f16_e32 v19, v20, v48
	v_add_f16_e32 v20, v45, v50
	v_add_f16_e32 v35, v47, v46
	;; [unrolled: 1-line block ×3, first 2 shown]
	v_sub_f16_e32 v46, v47, v46
	v_sub_f16_e32 v4, v4, v22
	v_add_f16_e32 v22, v32, v40
	v_add_f16_e32 v47, v5, v21
	v_sub_f16_e32 v32, v32, v40
	v_sub_f16_e32 v5, v5, v21
	v_add_f16_e32 v21, v36, v38
	v_add_f16_e32 v40, v6, v7
	;; [unrolled: 4-line block ×3, first 2 shown]
	v_sub_f16_e32 v54, v49, v1
	v_add_f16_e32 v55, v31, v53
	v_add_f16_e32 v1, v1, v49
	v_sub_f16_e32 v31, v53, v31
	v_sub_f16_e32 v48, v22, v35
	;; [unrolled: 1-line block ×7, first 2 shown]
	v_add_f16_e32 v50, v36, v32
	v_add_f16_e32 v53, v6, v5
	v_sub_f16_e32 v56, v36, v32
	v_sub_f16_e32 v57, v6, v5
	v_add_f16_e32 v7, v21, v7
	v_add_f16_e32 v21, v40, v38
	v_sub_f16_e32 v36, v46, v36
	v_sub_f16_e32 v6, v4, v6
	;; [unrolled: 1-line block ×4, first 2 shown]
	v_add_f16_e32 v38, v50, v46
	v_add_f16_e32 v4, v53, v4
	;; [unrolled: 1-line block ×3, first 2 shown]
	v_add_f16_sdwa v34, v34, v21 dst_sel:DWORD dst_unused:UNUSED_PAD src0_sel:WORD_1 src1_sel:DWORD
	v_mul_f16_e32 v35, 0x3a52, v35
	v_mul_f16_e32 v45, 0x3a52, v45
	;; [unrolled: 1-line block ×8, first 2 shown]
	v_fma_f16 v7, v7, s4, v40
	v_fma_f16 v21, v21, s4, v34
	;; [unrolled: 1-line block ×4, first 2 shown]
	v_fma_f16 v46, v48, s5, -v46
	v_fma_f16 v50, v49, s5, -v50
	;; [unrolled: 1-line block ×4, first 2 shown]
	v_fma_f16 v48, v36, s16, v53
	v_fma_f16 v49, v6, s16, v56
	v_fma_f16 v32, v32, s2, -v53
	v_fma_f16 v5, v5, s2, -v56
	;; [unrolled: 1-line block ×4, first 2 shown]
	v_add_f16_e32 v22, v22, v7
	v_add_f16_e32 v47, v47, v21
	v_add_f16_e32 v46, v46, v7
	v_add_f16_e32 v50, v50, v21
	v_add_f16_e32 v7, v35, v7
	v_add_f16_e32 v21, v45, v21
	v_fma_f16 v35, v38, s14, v48
	v_fma_f16 v45, v4, s14, v49
	v_pack_b32_f16 v1, v1, v31
	v_pack_b32_f16 v0, v0, v3
	v_fma_f16 v32, v38, s14, v32
	v_fma_f16 v5, v4, s14, v5
	;; [unrolled: 1-line block ×4, first 2 shown]
	v_add_f16_e32 v6, v45, v22
	v_sub_f16_e32 v38, v47, v35
	s_barrier
	v_pack_b32_f16 v33, v39, v33
	v_pack_b32_f16 v2, v2, v37
	ds_write2_b32 v64, v1, v0 offset0:136 offset1:170
	v_pack_b32_f16 v0, v19, v20
	v_add_f16_e32 v48, v4, v7
	v_sub_f16_e32 v49, v21, v36
	v_sub_f16_e32 v53, v46, v5
	v_add_f16_e32 v56, v32, v50
	ds_write2_b32 v64, v33, v2 offset1:34
	v_pack_b32_f16 v2, v51, v52
	v_pack_b32_f16 v33, v54, v55
	ds_write_b32 v64, v0 offset:816
	v_pack_b32_f16 v0, v40, v34
	v_pack_b32_f16 v1, v6, v38
	v_add_f16_e32 v5, v5, v46
	v_sub_f16_e32 v32, v50, v32
	v_sub_f16_e32 v4, v7, v4
	v_add_f16_e32 v7, v36, v21
	ds_write2_b32 v64, v2, v33 offset0:68 offset1:102
	ds_write2_b32 v65, v0, v1 offset1:34
	v_pack_b32_f16 v0, v48, v49
	v_pack_b32_f16 v1, v53, v56
	v_sub_f16_e32 v21, v22, v45
	v_add_f16_e32 v22, v35, v47
	ds_write2_b32 v65, v0, v1 offset0:68 offset1:102
	v_pack_b32_f16 v0, v5, v32
	v_pack_b32_f16 v1, v4, v7
	ds_write2_b32 v65, v0, v1 offset0:136 offset1:170
	v_pack_b32_f16 v0, v21, v22
	ds_write_b32 v65, v0 offset:816
	s_waitcnt lgkmcnt(0)
	s_barrier
	ds_read2_b32 v[0:1], v27 offset0:110 offset1:229
	ds_read2_b32 v[2:3], v44 offset1:119
	ds_read2_b32 v[4:5], v30 offset0:92 offset1:211
	ds_read2_b32 v[6:7], v17 offset0:74 offset1:193
	;; [unrolled: 1-line block ×5, first 2 shown]
	s_waitcnt lgkmcnt(4)
	v_lshrrev_b32_e32 v34, 16, v4
	s_waitcnt lgkmcnt(3)
	v_lshrrev_b32_e32 v35, 16, v6
	v_lshrrev_b32_e32 v33, 16, v0
	v_mul_f16_sdwa v49, v8, v33 dst_sel:DWORD dst_unused:UNUSED_PAD src0_sel:WORD_1 src1_sel:DWORD
	v_fma_f16 v49, v8, v0, v49
	v_mul_f16_sdwa v0, v8, v0 dst_sel:DWORD dst_unused:UNUSED_PAD src0_sel:WORD_1 src1_sel:DWORD
	v_fma_f16 v0, v8, v33, -v0
	v_mul_f16_sdwa v8, v9, v34 dst_sel:DWORD dst_unused:UNUSED_PAD src0_sel:WORD_1 src1_sel:DWORD
	v_fma_f16 v8, v9, v4, v8
	v_mul_f16_sdwa v4, v9, v4 dst_sel:DWORD dst_unused:UNUSED_PAD src0_sel:WORD_1 src1_sel:DWORD
	v_fma_f16 v4, v9, v34, -v4
	v_mul_f16_sdwa v9, v10, v35 dst_sel:DWORD dst_unused:UNUSED_PAD src0_sel:WORD_1 src1_sel:DWORD
	s_waitcnt lgkmcnt(2)
	v_lshrrev_b32_e32 v36, 16, v19
	v_fma_f16 v9, v10, v6, v9
	v_mul_f16_sdwa v6, v10, v6 dst_sel:DWORD dst_unused:UNUSED_PAD src0_sel:WORD_1 src1_sel:DWORD
	v_fma_f16 v6, v10, v35, -v6
	v_mul_f16_sdwa v10, v11, v36 dst_sel:DWORD dst_unused:UNUSED_PAD src0_sel:WORD_1 src1_sel:DWORD
	s_waitcnt lgkmcnt(1)
	v_lshrrev_b32_e32 v37, 16, v21
	;; [unrolled: 6-line block ×3, first 2 shown]
	v_fma_f16 v19, v23, v21, v19
	v_mul_f16_sdwa v21, v23, v21 dst_sel:DWORD dst_unused:UNUSED_PAD src0_sel:WORD_1 src1_sel:DWORD
	v_fma_f16 v21, v23, v37, -v21
	v_mul_f16_sdwa v23, v24, v38 dst_sel:DWORD dst_unused:UNUSED_PAD src0_sel:WORD_1 src1_sel:DWORD
	v_lshrrev_b32_e32 v39, 16, v1
	v_fma_f16 v23, v24, v31, v23
	v_mul_f16_sdwa v31, v24, v31 dst_sel:DWORD dst_unused:UNUSED_PAD src0_sel:WORD_1 src1_sel:DWORD
	v_fma_f16 v24, v24, v38, -v31
	v_mul_f16_sdwa v31, v12, v39 dst_sel:DWORD dst_unused:UNUSED_PAD src0_sel:WORD_1 src1_sel:DWORD
	v_lshrrev_b32_e32 v40, 16, v5
	;; [unrolled: 5-line block ×6, first 2 shown]
	v_fma_f16 v20, v25, v22, v20
	v_mul_f16_sdwa v22, v25, v22 dst_sel:DWORD dst_unused:UNUSED_PAD src0_sel:WORD_1 src1_sel:DWORD
	v_fma_f16 v22, v25, v47, -v22
	v_mul_f16_sdwa v25, v26, v48 dst_sel:DWORD dst_unused:UNUSED_PAD src0_sel:WORD_1 src1_sel:DWORD
	v_fma_f16 v25, v26, v32, v25
	v_mul_f16_sdwa v32, v26, v32 dst_sel:DWORD dst_unused:UNUSED_PAD src0_sel:WORD_1 src1_sel:DWORD
	v_fma_f16 v26, v26, v48, -v32
	v_add_f16_e32 v32, v49, v23
	v_add_f16_e32 v33, v0, v24
	v_sub_f16_e32 v0, v0, v24
	v_add_f16_e32 v24, v8, v19
	v_add_f16_e32 v34, v4, v21
	v_sub_f16_e32 v23, v49, v23
	v_sub_f16_e32 v8, v8, v19
	;; [unrolled: 1-line block ×3, first 2 shown]
	v_add_f16_e32 v19, v9, v10
	v_add_f16_e32 v21, v6, v11
	v_sub_f16_e32 v9, v10, v9
	v_sub_f16_e32 v6, v11, v6
	v_add_f16_e32 v10, v24, v32
	v_add_f16_e32 v11, v34, v33
	v_sub_f16_e32 v35, v24, v32
	v_sub_f16_e32 v36, v34, v33
	;; [unrolled: 1-line block ×6, first 2 shown]
	v_add_f16_e32 v37, v9, v8
	v_add_f16_e32 v38, v6, v4
	v_sub_f16_e32 v39, v9, v8
	v_sub_f16_e32 v40, v6, v4
	;; [unrolled: 1-line block ×4, first 2 shown]
	v_add_f16_e32 v10, v19, v10
	v_add_f16_e32 v11, v21, v11
	v_sub_f16_e32 v9, v23, v9
	v_sub_f16_e32 v6, v0, v6
	v_add_f16_e32 v19, v37, v23
	v_add_f16_e32 v0, v38, v0
	;; [unrolled: 1-line block ×3, first 2 shown]
	v_add_f16_sdwa v2, v2, v11 dst_sel:DWORD dst_unused:UNUSED_PAD src0_sel:WORD_1 src1_sel:DWORD
	v_mul_f16_e32 v23, 0x3a52, v32
	v_mul_f16_e32 v32, 0x3a52, v33
	;; [unrolled: 1-line block ×8, first 2 shown]
	v_fma_f16 v10, v10, s4, v21
	v_fma_f16 v11, v11, s4, v2
	;; [unrolled: 1-line block ×4, first 2 shown]
	v_fma_f16 v33, v35, s5, -v33
	v_fma_f16 v37, v36, s5, -v37
	;; [unrolled: 1-line block ×4, first 2 shown]
	v_fma_f16 v35, v9, s16, v38
	v_fma_f16 v36, v6, s16, v39
	v_fma_f16 v4, v4, s2, -v39
	v_fma_f16 v9, v9, s17, -v40
	;; [unrolled: 1-line block ×4, first 2 shown]
	v_add_f16_e32 v24, v24, v10
	v_add_f16_e32 v34, v34, v11
	;; [unrolled: 1-line block ×6, first 2 shown]
	v_fma_f16 v23, v19, s14, v35
	v_fma_f16 v32, v0, s14, v36
	;; [unrolled: 1-line block ×6, first 2 shown]
	v_add_f16_e32 v6, v32, v24
	v_sub_f16_e32 v19, v34, v23
	v_add_f16_e32 v35, v0, v10
	v_sub_f16_e32 v36, v11, v9
	v_sub_f16_e32 v0, v10, v0
	v_add_f16_e32 v9, v9, v11
	v_sub_f16_e32 v10, v24, v32
	v_add_f16_e32 v11, v23, v34
	v_add_f16_e32 v23, v31, v25
	;; [unrolled: 1-line block ×3, first 2 shown]
	v_sub_f16_e32 v25, v31, v25
	v_sub_f16_e32 v1, v1, v26
	v_add_f16_e32 v26, v12, v20
	v_add_f16_e32 v31, v5, v22
	v_sub_f16_e32 v12, v12, v20
	v_sub_f16_e32 v5, v5, v22
	v_add_f16_e32 v20, v13, v14
	v_add_f16_e32 v22, v7, v15
	;; [unrolled: 4-line block ×3, first 2 shown]
	v_sub_f16_e32 v38, v33, v4
	v_add_f16_e32 v39, v8, v37
	v_add_f16_e32 v4, v4, v33
	v_sub_f16_e32 v8, v37, v8
	v_sub_f16_e32 v32, v26, v23
	;; [unrolled: 1-line block ×7, first 2 shown]
	v_add_f16_e32 v34, v13, v12
	v_add_f16_e32 v37, v7, v5
	v_sub_f16_e32 v40, v13, v12
	v_sub_f16_e32 v45, v7, v5
	v_add_f16_e32 v14, v20, v14
	v_add_f16_e32 v15, v22, v15
	v_sub_f16_e32 v13, v25, v13
	v_sub_f16_e32 v7, v1, v7
	;; [unrolled: 1-line block ×4, first 2 shown]
	v_add_f16_e32 v20, v34, v25
	v_add_f16_e32 v1, v37, v1
	v_add_f16_e32 v22, v3, v14
	v_add_f16_sdwa v3, v3, v15 dst_sel:DWORD dst_unused:UNUSED_PAD src0_sel:WORD_1 src1_sel:DWORD
	v_mul_f16_e32 v23, 0x3a52, v23
	v_mul_f16_e32 v24, 0x3a52, v24
	v_mul_f16_e32 v25, 0x2b26, v26
	v_mul_f16_e32 v34, 0x2b26, v31
	v_mul_f16_e32 v37, 0x3846, v40
	v_mul_f16_e32 v40, 0x3846, v45
	v_mul_f16_e32 v45, 0xbb00, v12
	v_mul_f16_e32 v46, 0xbb00, v5
	v_fma_f16 v14, v14, s4, v22
	v_fma_f16 v15, v15, s4, v3
	;; [unrolled: 1-line block ×4, first 2 shown]
	v_fma_f16 v25, v32, s5, -v25
	v_fma_f16 v34, v33, s5, -v34
	;; [unrolled: 1-line block ×4, first 2 shown]
	v_fma_f16 v32, v13, s16, v37
	v_fma_f16 v33, v7, s16, v40
	v_fma_f16 v12, v12, s2, -v37
	v_fma_f16 v5, v5, s2, -v40
	;; [unrolled: 1-line block ×4, first 2 shown]
	v_add_f16_e32 v26, v26, v14
	v_add_f16_e32 v31, v31, v15
	;; [unrolled: 1-line block ×6, first 2 shown]
	v_fma_f16 v23, v20, s14, v32
	v_fma_f16 v24, v1, s14, v33
	v_fma_f16 v12, v20, s14, v12
	v_fma_f16 v5, v1, s14, v5
	v_fma_f16 v13, v20, s14, v13
	v_fma_f16 v1, v1, s14, v7
	v_add_f16_e32 v7, v24, v26
	v_sub_f16_e32 v20, v31, v23
	v_pack_b32_f16 v2, v21, v2
	v_pack_b32_f16 v3, v22, v3
	v_add_f16_e32 v32, v1, v14
	v_sub_f16_e32 v33, v15, v13
	v_pack_b32_f16 v6, v6, v19
	ds_write2_b32 v44, v2, v3 offset1:119
	v_pack_b32_f16 v2, v7, v20
	v_sub_f16_e32 v37, v25, v5
	v_add_f16_e32 v40, v12, v34
	v_sub_f16_e32 v1, v14, v1
	v_add_f16_e32 v13, v13, v15
	v_pack_b32_f16 v19, v35, v36
	ds_write2_b32 v27, v6, v2 offset0:110 offset1:229
	v_pack_b32_f16 v2, v32, v33
	v_add_f16_e32 v5, v5, v25
	v_sub_f16_e32 v12, v34, v12
	v_sub_f16_e32 v14, v26, v24
	v_add_f16_e32 v15, v23, v31
	v_pack_b32_f16 v21, v38, v39
	v_pack_b32_f16 v0, v0, v9
	ds_write2_b32 v30, v19, v2 offset0:92 offset1:211
	v_pack_b32_f16 v2, v37, v40
	v_pack_b32_f16 v1, v1, v13
	;; [unrolled: 1-line block ×4, first 2 shown]
	ds_write2_b32 v17, v21, v2 offset0:74 offset1:193
	v_pack_b32_f16 v2, v5, v12
	ds_write2_b32 v28, v0, v1 offset0:38 offset1:157
	v_pack_b32_f16 v0, v14, v15
	ds_write2_b32 v18, v4, v2 offset0:56 offset1:175
	ds_write2_b32 v29, v8, v0 offset0:20 offset1:139
	s_waitcnt lgkmcnt(0)
	s_barrier
	s_and_b64 exec, exec, s[0:1]
	s_cbranch_execz .LBB0_15
; %bb.14:
	global_load_dword v8, v41, s[6:7]
	v_mad_u64_u32 v[0:1], s[0:1], s10, v16, 0
	v_mov_b32_e32 v2, 0x7c00
	v_mad_u64_u32 v[3:4], s[0:1], s8, v43, 0
	v_mad_u64_u32 v[5:6], s[0:1], s11, v16, v[1:2]
	ds_read_b32 v9, v44
	s_mov_b32 s14, 0xca869b81
	v_mad_u64_u32 v[6:7], s[0:1], s9, v43, v[4:5]
	v_mov_b32_e32 v1, v5
	s_waitcnt lgkmcnt(0)
	v_lshrrev_b32_e32 v7, 16, v9
	v_mov_b32_e32 v4, v6
	v_lshlrev_b64 v[0:1], 2, v[0:1]
	s_mov_b32 s15, 0x3f43ab2d
	v_mov_b32_e32 v10, s13
	v_lshlrev_b64 v[3:4], 2, v[3:4]
	s_movk_i32 s16, 0x1ff
	s_movk_i32 s10, 0xffe
	;; [unrolled: 1-line block ×3, first 2 shown]
	s_mov_b32 s17, 0x8000
	s_waitcnt vmcnt(0)
	v_mul_f16_sdwa v5, v7, v8 dst_sel:DWORD dst_unused:UNUSED_PAD src0_sel:DWORD src1_sel:WORD_1
	v_fma_f16 v5, v9, v8, v5
	v_mul_f16_sdwa v6, v9, v8 dst_sel:DWORD dst_unused:UNUSED_PAD src0_sel:DWORD src1_sel:WORD_1
	v_cvt_f32_f16_e32 v5, v5
	v_fma_f16 v6, v8, v7, -v6
	v_cvt_f32_f16_e32 v7, v6
	v_add_co_u32_e32 v9, vcc, s12, v0
	v_cvt_f64_f32_e32 v[5:6], v5
	v_cvt_f64_f32_e32 v[7:8], v7
	v_addc_co_u32_e32 v10, vcc, v10, v1, vcc
	v_mul_f64 v[5:6], v[5:6], s[14:15]
	v_mul_f64 v[0:1], v[7:8], s[14:15]
	v_add_co_u32_e32 v3, vcc, v9, v3
	v_addc_co_u32_e32 v4, vcc, v10, v4, vcc
	v_and_or_b32 v5, v6, s16, v5
	v_and_or_b32 v0, v1, s16, v0
	v_cmp_ne_u32_e32 vcc, 0, v5
	v_lshrrev_b32_e32 v7, 8, v6
	v_bfe_u32 v8, v6, 20, 11
	v_cndmask_b32_e64 v5, 0, 1, vcc
	v_cmp_ne_u32_e32 vcc, 0, v0
	v_lshrrev_b32_e32 v9, 8, v1
	v_bfe_u32 v10, v1, 20, 11
	v_sub_u32_e32 v11, 0x3f1, v8
	v_cndmask_b32_e64 v0, 0, 1, vcc
	v_and_or_b32 v5, v7, s10, v5
	v_sub_u32_e32 v12, 0x3f1, v10
	v_med3_i32 v7, v11, 0, 13
	v_and_or_b32 v0, v9, s10, v0
	v_or_b32_e32 v11, 0x1000, v5
	v_add_u32_e32 v8, 0xfffffc10, v8
	v_med3_i32 v9, v12, 0, 13
	v_cmp_ne_u32_e32 vcc, 0, v5
	v_or_b32_e32 v13, 0x1000, v0
	v_lshrrev_b32_e32 v15, v7, v11
	v_add_u32_e32 v10, 0xfffffc10, v10
	v_lshl_or_b32 v12, v8, 12, v5
	v_cndmask_b32_e64 v5, 0, 1, vcc
	v_cmp_ne_u32_e32 vcc, 0, v0
	v_lshrrev_b32_e32 v16, v9, v13
	v_lshlrev_b32_e32 v7, v7, v15
	v_lshl_or_b32 v14, v10, 12, v0
	v_cndmask_b32_e64 v0, 0, 1, vcc
	v_lshlrev_b32_e32 v9, v9, v16
	v_cmp_ne_u32_e32 vcc, v7, v11
	v_cndmask_b32_e64 v7, 0, 1, vcc
	v_cmp_ne_u32_e32 vcc, v9, v13
	v_cndmask_b32_e64 v9, 0, 1, vcc
	v_or_b32_e32 v7, v15, v7
	v_cmp_gt_i32_e32 vcc, 1, v8
	v_cndmask_b32_e32 v7, v12, v7, vcc
	v_or_b32_e32 v9, v16, v9
	v_cmp_gt_i32_e32 vcc, 1, v10
	v_and_b32_e32 v11, 7, v7
	v_cndmask_b32_e32 v9, v14, v9, vcc
	v_cmp_lt_i32_e32 vcc, 5, v11
	v_cmp_eq_u32_e64 s[0:1], 3, v11
	v_lshrrev_b32_e32 v7, 2, v7
	v_and_b32_e32 v12, 7, v9
	s_or_b64 vcc, s[0:1], vcc
	v_cmp_lt_i32_e64 s[2:3], 5, v12
	v_cmp_eq_u32_e64 s[4:5], 3, v12
	v_addc_co_u32_e32 v7, vcc, 0, v7, vcc
	v_lshrrev_b32_e32 v9, 2, v9
	s_or_b64 vcc, s[4:5], s[2:3]
	v_addc_co_u32_e32 v9, vcc, 0, v9, vcc
	v_cmp_gt_i32_e32 vcc, 31, v8
	v_cndmask_b32_e32 v7, v2, v7, vcc
	v_cmp_gt_i32_e32 vcc, 31, v10
	v_lshl_or_b32 v5, v5, 9, v2
	v_cndmask_b32_e32 v9, v2, v9, vcc
	v_cmp_eq_u32_e32 vcc, s18, v8
	v_lshrrev_b32_e32 v6, 16, v6
	v_lshl_or_b32 v0, v0, 9, v2
	v_cndmask_b32_e32 v5, v7, v5, vcc
	v_cmp_eq_u32_e32 vcc, s18, v10
	v_lshrrev_b32_e32 v1, 16, v1
	v_cndmask_b32_e32 v0, v9, v0, vcc
	v_and_or_b32 v5, v6, s17, v5
	v_and_or_b32 v0, v1, s17, v0
	v_and_b32_e32 v1, 0xffff, v5
	v_lshl_or_b32 v0, v0, 16, v1
	global_store_dword v[3:4], v0, off
	global_load_dword v5, v41, s[6:7] offset:392
	ds_read2_b32 v[0:1], v42 offset0:98 offset1:196
	s_mul_i32 s0, s9, 0x188
	s_mul_hi_u32 s9, s8, 0x188
	s_mulk_i32 s8, 0x188
	s_add_i32 s9, s9, s0
	s_waitcnt lgkmcnt(0)
	v_lshrrev_b32_e32 v6, 16, v0
	v_add_co_u32_e32 v3, vcc, s8, v3
	s_waitcnt vmcnt(0)
	v_mul_f16_sdwa v7, v6, v5 dst_sel:DWORD dst_unused:UNUSED_PAD src0_sel:DWORD src1_sel:WORD_1
	v_fma_f16 v7, v0, v5, v7
	v_mul_f16_sdwa v0, v0, v5 dst_sel:DWORD dst_unused:UNUSED_PAD src0_sel:DWORD src1_sel:WORD_1
	v_cvt_f32_f16_e32 v7, v7
	v_fma_f16 v0, v5, v6, -v0
	v_cvt_f32_f16_e32 v0, v0
	v_cvt_f64_f32_e32 v[5:6], v7
	v_cvt_f64_f32_e32 v[7:8], v0
	v_mov_b32_e32 v0, s9
	v_mul_f64 v[5:6], v[5:6], s[14:15]
	v_addc_co_u32_e32 v4, vcc, v4, v0, vcc
	v_mul_f64 v[7:8], v[7:8], s[14:15]
	v_and_or_b32 v0, v6, s16, v5
	v_cmp_ne_u32_e32 vcc, 0, v0
	v_lshrrev_b32_e32 v5, 8, v6
	v_and_or_b32 v7, v8, s16, v7
	v_bfe_u32 v9, v6, 20, 11
	v_cndmask_b32_e64 v0, 0, 1, vcc
	v_cmp_ne_u32_e32 vcc, 0, v7
	v_lshrrev_b32_e32 v10, 8, v8
	v_bfe_u32 v11, v8, 20, 11
	v_sub_u32_e32 v12, 0x3f1, v9
	v_cndmask_b32_e64 v7, 0, 1, vcc
	v_and_or_b32 v0, v5, s10, v0
	v_sub_u32_e32 v13, 0x3f1, v11
	v_med3_i32 v5, v12, 0, 13
	v_and_or_b32 v7, v10, s10, v7
	v_or_b32_e32 v12, 0x1000, v0
	v_add_u32_e32 v9, 0xfffffc10, v9
	v_med3_i32 v10, v13, 0, 13
	v_cmp_ne_u32_e32 vcc, 0, v0
	v_or_b32_e32 v14, 0x1000, v7
	v_lshrrev_b32_e32 v16, v5, v12
	v_add_u32_e32 v11, 0xfffffc10, v11
	v_lshl_or_b32 v13, v9, 12, v0
	v_cndmask_b32_e64 v0, 0, 1, vcc
	v_cmp_ne_u32_e32 vcc, 0, v7
	v_lshrrev_b32_e32 v17, v10, v14
	v_lshlrev_b32_e32 v5, v5, v16
	v_lshl_or_b32 v15, v11, 12, v7
	v_cndmask_b32_e64 v7, 0, 1, vcc
	v_lshlrev_b32_e32 v10, v10, v17
	v_cmp_ne_u32_e32 vcc, v5, v12
	v_cndmask_b32_e64 v5, 0, 1, vcc
	v_cmp_ne_u32_e32 vcc, v10, v14
	v_cndmask_b32_e64 v10, 0, 1, vcc
	v_or_b32_e32 v5, v16, v5
	v_cmp_gt_i32_e32 vcc, 1, v9
	v_cndmask_b32_e32 v5, v13, v5, vcc
	v_or_b32_e32 v10, v17, v10
	v_cmp_gt_i32_e32 vcc, 1, v11
	v_and_b32_e32 v12, 7, v5
	v_cndmask_b32_e32 v10, v15, v10, vcc
	v_cmp_lt_i32_e32 vcc, 5, v12
	v_cmp_eq_u32_e64 s[0:1], 3, v12
	v_lshrrev_b32_e32 v5, 2, v5
	v_and_b32_e32 v13, 7, v10
	s_or_b64 vcc, s[0:1], vcc
	v_cmp_lt_i32_e64 s[2:3], 5, v13
	v_cmp_eq_u32_e64 s[4:5], 3, v13
	v_addc_co_u32_e32 v5, vcc, 0, v5, vcc
	v_lshrrev_b32_e32 v10, 2, v10
	s_or_b64 vcc, s[4:5], s[2:3]
	v_addc_co_u32_e32 v10, vcc, 0, v10, vcc
	v_cmp_gt_i32_e32 vcc, 31, v9
	v_cndmask_b32_e32 v5, v2, v5, vcc
	v_cmp_gt_i32_e32 vcc, 31, v11
	v_lshl_or_b32 v0, v0, 9, v2
	v_cndmask_b32_e32 v10, v2, v10, vcc
	v_cmp_eq_u32_e32 vcc, s18, v9
	v_lshrrev_b32_e32 v6, 16, v6
	v_lshl_or_b32 v7, v7, 9, v2
	v_cndmask_b32_e32 v0, v5, v0, vcc
	v_cmp_eq_u32_e32 vcc, s18, v11
	v_lshrrev_b32_e32 v8, 16, v8
	v_cndmask_b32_e32 v5, v10, v7, vcc
	v_and_or_b32 v0, v6, s17, v0
	v_and_or_b32 v5, v8, s17, v5
	v_and_b32_e32 v0, 0xffff, v0
	v_lshl_or_b32 v0, v5, 16, v0
	global_store_dword v[3:4], v0, off
	global_load_dword v0, v41, s[6:7] offset:784
	v_lshrrev_b32_e32 v5, 16, v1
	v_mov_b32_e32 v7, s9
	v_add_co_u32_e32 v3, vcc, s8, v3
	v_addc_co_u32_e32 v4, vcc, v4, v7, vcc
	s_waitcnt vmcnt(0)
	v_mul_f16_sdwa v6, v5, v0 dst_sel:DWORD dst_unused:UNUSED_PAD src0_sel:DWORD src1_sel:WORD_1
	v_fma_f16 v6, v1, v0, v6
	v_mul_f16_sdwa v1, v1, v0 dst_sel:DWORD dst_unused:UNUSED_PAD src0_sel:DWORD src1_sel:WORD_1
	v_cvt_f32_f16_e32 v6, v6
	v_fma_f16 v0, v0, v5, -v1
	v_cvt_f32_f16_e32 v5, v0
	v_cvt_f64_f32_e32 v[0:1], v6
	v_cvt_f64_f32_e32 v[5:6], v5
	v_mul_f64 v[0:1], v[0:1], s[14:15]
	v_mul_f64 v[5:6], v[5:6], s[14:15]
	v_and_or_b32 v0, v1, s16, v0
	v_cmp_ne_u32_e32 vcc, 0, v0
	v_and_or_b32 v5, v6, s16, v5
	v_lshrrev_b32_e32 v7, 8, v1
	v_bfe_u32 v8, v1, 20, 11
	v_cndmask_b32_e64 v0, 0, 1, vcc
	v_cmp_ne_u32_e32 vcc, 0, v5
	v_lshrrev_b32_e32 v9, 8, v6
	v_bfe_u32 v10, v6, 20, 11
	v_sub_u32_e32 v11, 0x3f1, v8
	v_cndmask_b32_e64 v5, 0, 1, vcc
	v_and_or_b32 v0, v7, s10, v0
	v_sub_u32_e32 v12, 0x3f1, v10
	v_med3_i32 v7, v11, 0, 13
	v_and_or_b32 v5, v9, s10, v5
	v_or_b32_e32 v11, 0x1000, v0
	v_add_u32_e32 v8, 0xfffffc10, v8
	v_med3_i32 v9, v12, 0, 13
	v_cmp_ne_u32_e32 vcc, 0, v0
	v_or_b32_e32 v13, 0x1000, v5
	v_lshrrev_b32_e32 v15, v7, v11
	v_add_u32_e32 v10, 0xfffffc10, v10
	v_lshl_or_b32 v12, v8, 12, v0
	v_cndmask_b32_e64 v0, 0, 1, vcc
	v_cmp_ne_u32_e32 vcc, 0, v5
	v_lshrrev_b32_e32 v16, v9, v13
	v_lshlrev_b32_e32 v7, v7, v15
	v_lshl_or_b32 v14, v10, 12, v5
	v_cndmask_b32_e64 v5, 0, 1, vcc
	v_lshlrev_b32_e32 v9, v9, v16
	v_cmp_ne_u32_e32 vcc, v7, v11
	v_cndmask_b32_e64 v7, 0, 1, vcc
	v_cmp_ne_u32_e32 vcc, v9, v13
	v_cndmask_b32_e64 v9, 0, 1, vcc
	v_or_b32_e32 v7, v15, v7
	v_cmp_gt_i32_e32 vcc, 1, v8
	v_cndmask_b32_e32 v7, v12, v7, vcc
	v_or_b32_e32 v9, v16, v9
	v_cmp_gt_i32_e32 vcc, 1, v10
	v_and_b32_e32 v11, 7, v7
	v_cndmask_b32_e32 v9, v14, v9, vcc
	v_cmp_lt_i32_e32 vcc, 5, v11
	v_cmp_eq_u32_e64 s[0:1], 3, v11
	v_lshrrev_b32_e32 v7, 2, v7
	v_and_b32_e32 v12, 7, v9
	s_or_b64 vcc, s[0:1], vcc
	v_cmp_lt_i32_e64 s[2:3], 5, v12
	v_cmp_eq_u32_e64 s[4:5], 3, v12
	v_addc_co_u32_e32 v7, vcc, 0, v7, vcc
	v_lshrrev_b32_e32 v9, 2, v9
	s_or_b64 vcc, s[4:5], s[2:3]
	v_addc_co_u32_e32 v9, vcc, 0, v9, vcc
	v_cmp_gt_i32_e32 vcc, 31, v8
	v_cndmask_b32_e32 v7, v2, v7, vcc
	v_cmp_gt_i32_e32 vcc, 31, v10
	v_lshl_or_b32 v0, v0, 9, v2
	v_cndmask_b32_e32 v9, v2, v9, vcc
	v_cmp_eq_u32_e32 vcc, s18, v8
	v_lshrrev_b32_e32 v1, 16, v1
	v_lshl_or_b32 v5, v5, 9, v2
	v_cndmask_b32_e32 v0, v7, v0, vcc
	v_cmp_eq_u32_e32 vcc, s18, v10
	v_lshrrev_b32_e32 v6, 16, v6
	v_cndmask_b32_e32 v5, v9, v5, vcc
	v_and_or_b32 v0, v1, s17, v0
	v_and_or_b32 v1, v6, s17, v5
	v_and_b32_e32 v0, 0xffff, v0
	v_lshl_or_b32 v0, v1, 16, v0
	global_store_dword v[3:4], v0, off
	global_load_dword v5, v41, s[6:7] offset:1176
	v_add_u32_e32 v0, 0x400, v42
	ds_read2_b32 v[0:1], v0 offset0:38 offset1:136
	v_add_co_u32_e32 v3, vcc, s8, v3
	s_waitcnt lgkmcnt(0)
	v_lshrrev_b32_e32 v6, 16, v0
	s_waitcnt vmcnt(0)
	v_mul_f16_sdwa v7, v6, v5 dst_sel:DWORD dst_unused:UNUSED_PAD src0_sel:DWORD src1_sel:WORD_1
	v_fma_f16 v7, v0, v5, v7
	v_mul_f16_sdwa v0, v0, v5 dst_sel:DWORD dst_unused:UNUSED_PAD src0_sel:DWORD src1_sel:WORD_1
	v_cvt_f32_f16_e32 v7, v7
	v_fma_f16 v0, v5, v6, -v0
	v_cvt_f32_f16_e32 v0, v0
	v_cvt_f64_f32_e32 v[5:6], v7
	v_cvt_f64_f32_e32 v[7:8], v0
	v_mov_b32_e32 v0, s9
	v_mul_f64 v[5:6], v[5:6], s[14:15]
	v_addc_co_u32_e32 v4, vcc, v4, v0, vcc
	v_mul_f64 v[7:8], v[7:8], s[14:15]
	v_and_or_b32 v0, v6, s16, v5
	v_cmp_ne_u32_e32 vcc, 0, v0
	v_lshrrev_b32_e32 v5, 8, v6
	v_and_or_b32 v7, v8, s16, v7
	v_bfe_u32 v9, v6, 20, 11
	v_cndmask_b32_e64 v0, 0, 1, vcc
	v_cmp_ne_u32_e32 vcc, 0, v7
	v_lshrrev_b32_e32 v10, 8, v8
	v_bfe_u32 v11, v8, 20, 11
	v_sub_u32_e32 v12, 0x3f1, v9
	v_cndmask_b32_e64 v7, 0, 1, vcc
	v_and_or_b32 v0, v5, s10, v0
	v_sub_u32_e32 v13, 0x3f1, v11
	v_med3_i32 v5, v12, 0, 13
	v_and_or_b32 v7, v10, s10, v7
	v_or_b32_e32 v12, 0x1000, v0
	v_add_u32_e32 v9, 0xfffffc10, v9
	v_med3_i32 v10, v13, 0, 13
	v_cmp_ne_u32_e32 vcc, 0, v0
	v_or_b32_e32 v14, 0x1000, v7
	v_lshrrev_b32_e32 v16, v5, v12
	v_add_u32_e32 v11, 0xfffffc10, v11
	v_lshl_or_b32 v13, v9, 12, v0
	v_cndmask_b32_e64 v0, 0, 1, vcc
	v_cmp_ne_u32_e32 vcc, 0, v7
	v_lshrrev_b32_e32 v17, v10, v14
	v_lshlrev_b32_e32 v5, v5, v16
	v_lshl_or_b32 v15, v11, 12, v7
	v_cndmask_b32_e64 v7, 0, 1, vcc
	v_lshlrev_b32_e32 v10, v10, v17
	v_cmp_ne_u32_e32 vcc, v5, v12
	v_cndmask_b32_e64 v5, 0, 1, vcc
	v_cmp_ne_u32_e32 vcc, v10, v14
	v_cndmask_b32_e64 v10, 0, 1, vcc
	v_or_b32_e32 v5, v16, v5
	v_cmp_gt_i32_e32 vcc, 1, v9
	v_cndmask_b32_e32 v5, v13, v5, vcc
	v_or_b32_e32 v10, v17, v10
	v_cmp_gt_i32_e32 vcc, 1, v11
	v_and_b32_e32 v12, 7, v5
	v_cndmask_b32_e32 v10, v15, v10, vcc
	v_cmp_lt_i32_e32 vcc, 5, v12
	v_cmp_eq_u32_e64 s[0:1], 3, v12
	v_lshrrev_b32_e32 v5, 2, v5
	v_and_b32_e32 v13, 7, v10
	s_or_b64 vcc, s[0:1], vcc
	v_cmp_lt_i32_e64 s[2:3], 5, v13
	v_cmp_eq_u32_e64 s[4:5], 3, v13
	v_addc_co_u32_e32 v5, vcc, 0, v5, vcc
	v_lshrrev_b32_e32 v10, 2, v10
	s_or_b64 vcc, s[4:5], s[2:3]
	v_addc_co_u32_e32 v10, vcc, 0, v10, vcc
	v_cmp_gt_i32_e32 vcc, 31, v9
	v_cndmask_b32_e32 v5, v2, v5, vcc
	v_cmp_gt_i32_e32 vcc, 31, v11
	v_lshl_or_b32 v0, v0, 9, v2
	v_cndmask_b32_e32 v10, v2, v10, vcc
	v_cmp_eq_u32_e32 vcc, s18, v9
	v_lshrrev_b32_e32 v6, 16, v6
	v_lshl_or_b32 v7, v7, 9, v2
	v_cndmask_b32_e32 v0, v5, v0, vcc
	v_cmp_eq_u32_e32 vcc, s18, v11
	v_lshrrev_b32_e32 v8, 16, v8
	v_cndmask_b32_e32 v5, v10, v7, vcc
	v_and_or_b32 v0, v6, s17, v0
	v_and_or_b32 v5, v8, s17, v5
	v_and_b32_e32 v0, 0xffff, v0
	v_lshl_or_b32 v0, v5, 16, v0
	global_store_dword v[3:4], v0, off
	global_load_dword v0, v41, s[6:7] offset:1568
	v_lshrrev_b32_e32 v5, 16, v1
	v_mov_b32_e32 v7, s9
	v_add_co_u32_e32 v3, vcc, s8, v3
	v_addc_co_u32_e32 v4, vcc, v4, v7, vcc
	s_waitcnt vmcnt(0)
	v_mul_f16_sdwa v6, v5, v0 dst_sel:DWORD dst_unused:UNUSED_PAD src0_sel:DWORD src1_sel:WORD_1
	v_fma_f16 v6, v1, v0, v6
	v_mul_f16_sdwa v1, v1, v0 dst_sel:DWORD dst_unused:UNUSED_PAD src0_sel:DWORD src1_sel:WORD_1
	v_cvt_f32_f16_e32 v6, v6
	v_fma_f16 v0, v0, v5, -v1
	v_cvt_f32_f16_e32 v5, v0
	v_cvt_f64_f32_e32 v[0:1], v6
	v_cvt_f64_f32_e32 v[5:6], v5
	v_mul_f64 v[0:1], v[0:1], s[14:15]
	v_mul_f64 v[5:6], v[5:6], s[14:15]
	v_and_or_b32 v0, v1, s16, v0
	v_cmp_ne_u32_e32 vcc, 0, v0
	v_and_or_b32 v5, v6, s16, v5
	v_lshrrev_b32_e32 v7, 8, v1
	v_bfe_u32 v8, v1, 20, 11
	v_cndmask_b32_e64 v0, 0, 1, vcc
	v_cmp_ne_u32_e32 vcc, 0, v5
	v_lshrrev_b32_e32 v9, 8, v6
	v_bfe_u32 v10, v6, 20, 11
	v_sub_u32_e32 v11, 0x3f1, v8
	v_cndmask_b32_e64 v5, 0, 1, vcc
	v_and_or_b32 v0, v7, s10, v0
	v_sub_u32_e32 v12, 0x3f1, v10
	v_med3_i32 v7, v11, 0, 13
	v_and_or_b32 v5, v9, s10, v5
	v_or_b32_e32 v11, 0x1000, v0
	v_add_u32_e32 v8, 0xfffffc10, v8
	v_med3_i32 v9, v12, 0, 13
	v_cmp_ne_u32_e32 vcc, 0, v0
	v_or_b32_e32 v13, 0x1000, v5
	v_lshrrev_b32_e32 v15, v7, v11
	v_add_u32_e32 v10, 0xfffffc10, v10
	v_lshl_or_b32 v12, v8, 12, v0
	v_cndmask_b32_e64 v0, 0, 1, vcc
	v_cmp_ne_u32_e32 vcc, 0, v5
	v_lshrrev_b32_e32 v16, v9, v13
	v_lshlrev_b32_e32 v7, v7, v15
	v_lshl_or_b32 v14, v10, 12, v5
	v_cndmask_b32_e64 v5, 0, 1, vcc
	v_lshlrev_b32_e32 v9, v9, v16
	v_cmp_ne_u32_e32 vcc, v7, v11
	v_cndmask_b32_e64 v7, 0, 1, vcc
	v_cmp_ne_u32_e32 vcc, v9, v13
	v_cndmask_b32_e64 v9, 0, 1, vcc
	v_or_b32_e32 v7, v15, v7
	v_cmp_gt_i32_e32 vcc, 1, v8
	v_cndmask_b32_e32 v7, v12, v7, vcc
	v_or_b32_e32 v9, v16, v9
	v_cmp_gt_i32_e32 vcc, 1, v10
	v_and_b32_e32 v11, 7, v7
	v_cndmask_b32_e32 v9, v14, v9, vcc
	v_cmp_lt_i32_e32 vcc, 5, v11
	v_cmp_eq_u32_e64 s[0:1], 3, v11
	v_lshrrev_b32_e32 v7, 2, v7
	v_and_b32_e32 v12, 7, v9
	s_or_b64 vcc, s[0:1], vcc
	v_cmp_lt_i32_e64 s[2:3], 5, v12
	v_cmp_eq_u32_e64 s[4:5], 3, v12
	v_addc_co_u32_e32 v7, vcc, 0, v7, vcc
	v_lshrrev_b32_e32 v9, 2, v9
	s_or_b64 vcc, s[4:5], s[2:3]
	v_addc_co_u32_e32 v9, vcc, 0, v9, vcc
	v_cmp_gt_i32_e32 vcc, 31, v8
	v_cndmask_b32_e32 v7, v2, v7, vcc
	v_cmp_gt_i32_e32 vcc, 31, v10
	v_lshl_or_b32 v0, v0, 9, v2
	v_cndmask_b32_e32 v9, v2, v9, vcc
	v_cmp_eq_u32_e32 vcc, s18, v8
	v_lshrrev_b32_e32 v1, 16, v1
	v_lshl_or_b32 v5, v5, 9, v2
	v_cndmask_b32_e32 v0, v7, v0, vcc
	v_cmp_eq_u32_e32 vcc, s18, v10
	v_lshrrev_b32_e32 v6, 16, v6
	v_cndmask_b32_e32 v5, v9, v5, vcc
	v_and_or_b32 v0, v1, s17, v0
	v_and_or_b32 v1, v6, s17, v5
	v_and_b32_e32 v0, 0xffff, v0
	v_lshl_or_b32 v0, v1, 16, v0
	global_store_dword v[3:4], v0, off
	global_load_dword v5, v41, s[6:7] offset:1960
	v_add_u32_e32 v0, 0x600, v42
	ds_read2_b32 v[0:1], v0 offset0:106 offset1:204
	v_add_co_u32_e32 v3, vcc, s8, v3
	s_waitcnt lgkmcnt(0)
	v_lshrrev_b32_e32 v6, 16, v0
	s_waitcnt vmcnt(0)
	v_mul_f16_sdwa v7, v6, v5 dst_sel:DWORD dst_unused:UNUSED_PAD src0_sel:DWORD src1_sel:WORD_1
	v_fma_f16 v7, v0, v5, v7
	v_mul_f16_sdwa v0, v0, v5 dst_sel:DWORD dst_unused:UNUSED_PAD src0_sel:DWORD src1_sel:WORD_1
	v_cvt_f32_f16_e32 v7, v7
	v_fma_f16 v0, v5, v6, -v0
	v_cvt_f32_f16_e32 v0, v0
	v_cvt_f64_f32_e32 v[5:6], v7
	v_cvt_f64_f32_e32 v[7:8], v0
	v_mov_b32_e32 v0, s9
	v_mul_f64 v[5:6], v[5:6], s[14:15]
	v_addc_co_u32_e32 v4, vcc, v4, v0, vcc
	v_mul_f64 v[7:8], v[7:8], s[14:15]
	v_and_or_b32 v0, v6, s16, v5
	v_cmp_ne_u32_e32 vcc, 0, v0
	v_lshrrev_b32_e32 v5, 8, v6
	v_and_or_b32 v7, v8, s16, v7
	v_bfe_u32 v9, v6, 20, 11
	v_cndmask_b32_e64 v0, 0, 1, vcc
	v_cmp_ne_u32_e32 vcc, 0, v7
	v_lshrrev_b32_e32 v10, 8, v8
	v_bfe_u32 v11, v8, 20, 11
	v_sub_u32_e32 v12, 0x3f1, v9
	v_cndmask_b32_e64 v7, 0, 1, vcc
	v_and_or_b32 v0, v5, s10, v0
	v_sub_u32_e32 v13, 0x3f1, v11
	v_med3_i32 v5, v12, 0, 13
	v_and_or_b32 v7, v10, s10, v7
	v_or_b32_e32 v12, 0x1000, v0
	v_add_u32_e32 v9, 0xfffffc10, v9
	v_med3_i32 v10, v13, 0, 13
	v_cmp_ne_u32_e32 vcc, 0, v0
	v_or_b32_e32 v14, 0x1000, v7
	v_lshrrev_b32_e32 v16, v5, v12
	v_add_u32_e32 v11, 0xfffffc10, v11
	v_lshl_or_b32 v13, v9, 12, v0
	v_cndmask_b32_e64 v0, 0, 1, vcc
	v_cmp_ne_u32_e32 vcc, 0, v7
	v_lshrrev_b32_e32 v17, v10, v14
	v_lshlrev_b32_e32 v5, v5, v16
	v_lshl_or_b32 v15, v11, 12, v7
	v_cndmask_b32_e64 v7, 0, 1, vcc
	v_lshlrev_b32_e32 v10, v10, v17
	v_cmp_ne_u32_e32 vcc, v5, v12
	v_cndmask_b32_e64 v5, 0, 1, vcc
	v_cmp_ne_u32_e32 vcc, v10, v14
	v_cndmask_b32_e64 v10, 0, 1, vcc
	v_or_b32_e32 v5, v16, v5
	v_cmp_gt_i32_e32 vcc, 1, v9
	v_cndmask_b32_e32 v5, v13, v5, vcc
	v_or_b32_e32 v10, v17, v10
	v_cmp_gt_i32_e32 vcc, 1, v11
	v_and_b32_e32 v12, 7, v5
	v_cndmask_b32_e32 v10, v15, v10, vcc
	v_cmp_lt_i32_e32 vcc, 5, v12
	v_cmp_eq_u32_e64 s[0:1], 3, v12
	v_lshrrev_b32_e32 v5, 2, v5
	v_and_b32_e32 v13, 7, v10
	s_or_b64 vcc, s[0:1], vcc
	v_cmp_lt_i32_e64 s[2:3], 5, v13
	v_cmp_eq_u32_e64 s[4:5], 3, v13
	v_addc_co_u32_e32 v5, vcc, 0, v5, vcc
	v_lshrrev_b32_e32 v10, 2, v10
	s_or_b64 vcc, s[4:5], s[2:3]
	v_addc_co_u32_e32 v10, vcc, 0, v10, vcc
	v_cmp_gt_i32_e32 vcc, 31, v9
	v_cndmask_b32_e32 v5, v2, v5, vcc
	v_cmp_gt_i32_e32 vcc, 31, v11
	v_lshl_or_b32 v0, v0, 9, v2
	v_cndmask_b32_e32 v10, v2, v10, vcc
	v_cmp_eq_u32_e32 vcc, s18, v9
	v_lshrrev_b32_e32 v6, 16, v6
	v_lshl_or_b32 v7, v7, 9, v2
	v_cndmask_b32_e32 v0, v5, v0, vcc
	v_cmp_eq_u32_e32 vcc, s18, v11
	v_lshrrev_b32_e32 v8, 16, v8
	v_cndmask_b32_e32 v5, v10, v7, vcc
	v_and_or_b32 v0, v6, s17, v0
	v_and_or_b32 v5, v8, s17, v5
	v_and_b32_e32 v0, 0xffff, v0
	v_lshl_or_b32 v0, v5, 16, v0
	global_store_dword v[3:4], v0, off
	global_load_dword v0, v41, s[6:7] offset:2352
	v_lshrrev_b32_e32 v5, 16, v1
	v_mov_b32_e32 v7, s9
	v_add_co_u32_e32 v3, vcc, s8, v3
	v_addc_co_u32_e32 v4, vcc, v4, v7, vcc
	s_waitcnt vmcnt(0)
	v_mul_f16_sdwa v6, v5, v0 dst_sel:DWORD dst_unused:UNUSED_PAD src0_sel:DWORD src1_sel:WORD_1
	v_fma_f16 v6, v1, v0, v6
	v_mul_f16_sdwa v1, v1, v0 dst_sel:DWORD dst_unused:UNUSED_PAD src0_sel:DWORD src1_sel:WORD_1
	v_cvt_f32_f16_e32 v6, v6
	v_fma_f16 v0, v0, v5, -v1
	v_cvt_f32_f16_e32 v5, v0
	v_cvt_f64_f32_e32 v[0:1], v6
	v_cvt_f64_f32_e32 v[5:6], v5
	v_mul_f64 v[0:1], v[0:1], s[14:15]
	v_mul_f64 v[5:6], v[5:6], s[14:15]
	v_and_or_b32 v0, v1, s16, v0
	v_cmp_ne_u32_e32 vcc, 0, v0
	v_and_or_b32 v5, v6, s16, v5
	v_lshrrev_b32_e32 v7, 8, v1
	v_bfe_u32 v8, v1, 20, 11
	v_cndmask_b32_e64 v0, 0, 1, vcc
	v_cmp_ne_u32_e32 vcc, 0, v5
	v_lshrrev_b32_e32 v9, 8, v6
	v_bfe_u32 v10, v6, 20, 11
	v_sub_u32_e32 v11, 0x3f1, v8
	v_cndmask_b32_e64 v5, 0, 1, vcc
	v_and_or_b32 v0, v7, s10, v0
	v_sub_u32_e32 v12, 0x3f1, v10
	v_med3_i32 v7, v11, 0, 13
	v_and_or_b32 v5, v9, s10, v5
	v_or_b32_e32 v11, 0x1000, v0
	v_add_u32_e32 v8, 0xfffffc10, v8
	v_med3_i32 v9, v12, 0, 13
	v_cmp_ne_u32_e32 vcc, 0, v0
	v_or_b32_e32 v13, 0x1000, v5
	v_lshrrev_b32_e32 v15, v7, v11
	v_add_u32_e32 v10, 0xfffffc10, v10
	v_lshl_or_b32 v12, v8, 12, v0
	v_cndmask_b32_e64 v0, 0, 1, vcc
	v_cmp_ne_u32_e32 vcc, 0, v5
	v_lshrrev_b32_e32 v16, v9, v13
	v_lshlrev_b32_e32 v7, v7, v15
	v_lshl_or_b32 v14, v10, 12, v5
	v_cndmask_b32_e64 v5, 0, 1, vcc
	v_lshlrev_b32_e32 v9, v9, v16
	v_cmp_ne_u32_e32 vcc, v7, v11
	v_cndmask_b32_e64 v7, 0, 1, vcc
	v_cmp_ne_u32_e32 vcc, v9, v13
	v_cndmask_b32_e64 v9, 0, 1, vcc
	v_or_b32_e32 v7, v15, v7
	v_cmp_gt_i32_e32 vcc, 1, v8
	v_cndmask_b32_e32 v7, v12, v7, vcc
	v_or_b32_e32 v9, v16, v9
	v_cmp_gt_i32_e32 vcc, 1, v10
	v_and_b32_e32 v11, 7, v7
	v_cndmask_b32_e32 v9, v14, v9, vcc
	v_cmp_lt_i32_e32 vcc, 5, v11
	v_cmp_eq_u32_e64 s[0:1], 3, v11
	v_lshrrev_b32_e32 v7, 2, v7
	v_and_b32_e32 v12, 7, v9
	s_or_b64 vcc, s[0:1], vcc
	v_cmp_lt_i32_e64 s[2:3], 5, v12
	v_cmp_eq_u32_e64 s[4:5], 3, v12
	v_addc_co_u32_e32 v7, vcc, 0, v7, vcc
	v_lshrrev_b32_e32 v9, 2, v9
	s_or_b64 vcc, s[4:5], s[2:3]
	v_addc_co_u32_e32 v9, vcc, 0, v9, vcc
	v_cmp_gt_i32_e32 vcc, 31, v8
	v_cndmask_b32_e32 v7, v2, v7, vcc
	v_cmp_gt_i32_e32 vcc, 31, v10
	v_lshl_or_b32 v0, v0, 9, v2
	v_cndmask_b32_e32 v9, v2, v9, vcc
	v_cmp_eq_u32_e32 vcc, s18, v8
	v_lshrrev_b32_e32 v1, 16, v1
	v_lshl_or_b32 v5, v5, 9, v2
	v_cndmask_b32_e32 v0, v7, v0, vcc
	v_cmp_eq_u32_e32 vcc, s18, v10
	v_lshrrev_b32_e32 v6, 16, v6
	v_cndmask_b32_e32 v5, v9, v5, vcc
	v_and_or_b32 v0, v1, s17, v0
	v_and_or_b32 v1, v6, s17, v5
	v_and_b32_e32 v0, 0xffff, v0
	v_lshl_or_b32 v0, v1, 16, v0
	global_store_dword v[3:4], v0, off
	global_load_dword v5, v41, s[6:7] offset:2744
	v_add_u32_e32 v0, 0xa00, v42
	ds_read2_b32 v[0:1], v0 offset0:46 offset1:144
	v_add_co_u32_e32 v3, vcc, s8, v3
	s_waitcnt lgkmcnt(0)
	v_lshrrev_b32_e32 v6, 16, v0
	s_waitcnt vmcnt(0)
	v_mul_f16_sdwa v7, v6, v5 dst_sel:DWORD dst_unused:UNUSED_PAD src0_sel:DWORD src1_sel:WORD_1
	v_fma_f16 v7, v0, v5, v7
	v_mul_f16_sdwa v0, v0, v5 dst_sel:DWORD dst_unused:UNUSED_PAD src0_sel:DWORD src1_sel:WORD_1
	v_cvt_f32_f16_e32 v7, v7
	v_fma_f16 v0, v5, v6, -v0
	v_cvt_f32_f16_e32 v0, v0
	v_cvt_f64_f32_e32 v[5:6], v7
	v_cvt_f64_f32_e32 v[7:8], v0
	v_mov_b32_e32 v0, s9
	v_mul_f64 v[5:6], v[5:6], s[14:15]
	v_addc_co_u32_e32 v4, vcc, v4, v0, vcc
	v_mul_f64 v[7:8], v[7:8], s[14:15]
	v_and_or_b32 v0, v6, s16, v5
	v_cmp_ne_u32_e32 vcc, 0, v0
	v_lshrrev_b32_e32 v5, 8, v6
	v_and_or_b32 v7, v8, s16, v7
	v_bfe_u32 v9, v6, 20, 11
	v_cndmask_b32_e64 v0, 0, 1, vcc
	v_cmp_ne_u32_e32 vcc, 0, v7
	v_lshrrev_b32_e32 v10, 8, v8
	v_bfe_u32 v11, v8, 20, 11
	v_sub_u32_e32 v12, 0x3f1, v9
	v_cndmask_b32_e64 v7, 0, 1, vcc
	v_and_or_b32 v0, v5, s10, v0
	v_sub_u32_e32 v13, 0x3f1, v11
	v_med3_i32 v5, v12, 0, 13
	v_and_or_b32 v7, v10, s10, v7
	v_or_b32_e32 v12, 0x1000, v0
	v_add_u32_e32 v9, 0xfffffc10, v9
	v_med3_i32 v10, v13, 0, 13
	v_cmp_ne_u32_e32 vcc, 0, v0
	v_or_b32_e32 v14, 0x1000, v7
	v_lshrrev_b32_e32 v16, v5, v12
	v_add_u32_e32 v11, 0xfffffc10, v11
	v_lshl_or_b32 v13, v9, 12, v0
	v_cndmask_b32_e64 v0, 0, 1, vcc
	v_cmp_ne_u32_e32 vcc, 0, v7
	v_lshrrev_b32_e32 v17, v10, v14
	v_lshlrev_b32_e32 v5, v5, v16
	v_lshl_or_b32 v15, v11, 12, v7
	v_cndmask_b32_e64 v7, 0, 1, vcc
	v_lshlrev_b32_e32 v10, v10, v17
	v_cmp_ne_u32_e32 vcc, v5, v12
	v_cndmask_b32_e64 v5, 0, 1, vcc
	v_cmp_ne_u32_e32 vcc, v10, v14
	v_cndmask_b32_e64 v10, 0, 1, vcc
	v_or_b32_e32 v5, v16, v5
	v_cmp_gt_i32_e32 vcc, 1, v9
	v_cndmask_b32_e32 v5, v13, v5, vcc
	v_or_b32_e32 v10, v17, v10
	v_cmp_gt_i32_e32 vcc, 1, v11
	v_and_b32_e32 v12, 7, v5
	v_cndmask_b32_e32 v10, v15, v10, vcc
	v_cmp_lt_i32_e32 vcc, 5, v12
	v_cmp_eq_u32_e64 s[0:1], 3, v12
	v_lshrrev_b32_e32 v5, 2, v5
	v_and_b32_e32 v13, 7, v10
	s_or_b64 vcc, s[0:1], vcc
	v_cmp_lt_i32_e64 s[2:3], 5, v13
	v_cmp_eq_u32_e64 s[4:5], 3, v13
	v_addc_co_u32_e32 v5, vcc, 0, v5, vcc
	v_lshrrev_b32_e32 v10, 2, v10
	s_or_b64 vcc, s[4:5], s[2:3]
	v_addc_co_u32_e32 v10, vcc, 0, v10, vcc
	v_cmp_gt_i32_e32 vcc, 31, v9
	v_cndmask_b32_e32 v5, v2, v5, vcc
	v_cmp_gt_i32_e32 vcc, 31, v11
	v_lshl_or_b32 v0, v0, 9, v2
	v_cndmask_b32_e32 v10, v2, v10, vcc
	v_cmp_eq_u32_e32 vcc, s18, v9
	v_lshrrev_b32_e32 v6, 16, v6
	v_lshl_or_b32 v7, v7, 9, v2
	v_cndmask_b32_e32 v0, v5, v0, vcc
	v_cmp_eq_u32_e32 vcc, s18, v11
	v_lshrrev_b32_e32 v8, 16, v8
	v_cndmask_b32_e32 v5, v10, v7, vcc
	v_and_or_b32 v0, v6, s17, v0
	v_and_or_b32 v5, v8, s17, v5
	v_and_b32_e32 v0, 0xffff, v0
	v_lshl_or_b32 v0, v5, 16, v0
	global_store_dword v[3:4], v0, off
	global_load_dword v0, v41, s[6:7] offset:3136
	v_lshrrev_b32_e32 v5, 16, v1
	v_mov_b32_e32 v7, s9
	v_add_co_u32_e32 v3, vcc, s8, v3
	v_addc_co_u32_e32 v4, vcc, v4, v7, vcc
	s_waitcnt vmcnt(0)
	v_mul_f16_sdwa v6, v5, v0 dst_sel:DWORD dst_unused:UNUSED_PAD src0_sel:DWORD src1_sel:WORD_1
	v_fma_f16 v6, v1, v0, v6
	v_mul_f16_sdwa v1, v1, v0 dst_sel:DWORD dst_unused:UNUSED_PAD src0_sel:DWORD src1_sel:WORD_1
	v_cvt_f32_f16_e32 v6, v6
	v_fma_f16 v0, v0, v5, -v1
	v_cvt_f32_f16_e32 v5, v0
	v_cvt_f64_f32_e32 v[0:1], v6
	v_cvt_f64_f32_e32 v[5:6], v5
	v_mul_f64 v[0:1], v[0:1], s[14:15]
	v_mul_f64 v[5:6], v[5:6], s[14:15]
	v_and_or_b32 v0, v1, s16, v0
	v_cmp_ne_u32_e32 vcc, 0, v0
	v_and_or_b32 v5, v6, s16, v5
	v_lshrrev_b32_e32 v7, 8, v1
	v_bfe_u32 v8, v1, 20, 11
	v_cndmask_b32_e64 v0, 0, 1, vcc
	v_cmp_ne_u32_e32 vcc, 0, v5
	v_lshrrev_b32_e32 v9, 8, v6
	v_bfe_u32 v10, v6, 20, 11
	v_sub_u32_e32 v11, 0x3f1, v8
	v_cndmask_b32_e64 v5, 0, 1, vcc
	v_and_or_b32 v0, v7, s10, v0
	v_sub_u32_e32 v12, 0x3f1, v10
	v_med3_i32 v7, v11, 0, 13
	v_and_or_b32 v5, v9, s10, v5
	v_or_b32_e32 v11, 0x1000, v0
	v_add_u32_e32 v8, 0xfffffc10, v8
	v_med3_i32 v9, v12, 0, 13
	v_cmp_ne_u32_e32 vcc, 0, v0
	v_or_b32_e32 v13, 0x1000, v5
	v_lshrrev_b32_e32 v15, v7, v11
	v_add_u32_e32 v10, 0xfffffc10, v10
	v_lshl_or_b32 v12, v8, 12, v0
	v_cndmask_b32_e64 v0, 0, 1, vcc
	v_cmp_ne_u32_e32 vcc, 0, v5
	v_lshrrev_b32_e32 v16, v9, v13
	v_lshlrev_b32_e32 v7, v7, v15
	v_lshl_or_b32 v14, v10, 12, v5
	v_cndmask_b32_e64 v5, 0, 1, vcc
	v_lshlrev_b32_e32 v9, v9, v16
	v_cmp_ne_u32_e32 vcc, v7, v11
	v_cndmask_b32_e64 v7, 0, 1, vcc
	v_cmp_ne_u32_e32 vcc, v9, v13
	v_cndmask_b32_e64 v9, 0, 1, vcc
	v_or_b32_e32 v7, v15, v7
	v_cmp_gt_i32_e32 vcc, 1, v8
	v_cndmask_b32_e32 v7, v12, v7, vcc
	v_or_b32_e32 v9, v16, v9
	v_cmp_gt_i32_e32 vcc, 1, v10
	v_and_b32_e32 v11, 7, v7
	v_cndmask_b32_e32 v9, v14, v9, vcc
	v_cmp_lt_i32_e32 vcc, 5, v11
	v_cmp_eq_u32_e64 s[0:1], 3, v11
	v_lshrrev_b32_e32 v7, 2, v7
	v_and_b32_e32 v12, 7, v9
	s_or_b64 vcc, s[0:1], vcc
	v_cmp_lt_i32_e64 s[2:3], 5, v12
	v_cmp_eq_u32_e64 s[4:5], 3, v12
	v_addc_co_u32_e32 v7, vcc, 0, v7, vcc
	v_lshrrev_b32_e32 v9, 2, v9
	s_or_b64 vcc, s[4:5], s[2:3]
	v_addc_co_u32_e32 v9, vcc, 0, v9, vcc
	v_cmp_gt_i32_e32 vcc, 31, v8
	v_cndmask_b32_e32 v7, v2, v7, vcc
	v_cmp_gt_i32_e32 vcc, 31, v10
	v_lshl_or_b32 v0, v0, 9, v2
	v_cndmask_b32_e32 v9, v2, v9, vcc
	v_cmp_eq_u32_e32 vcc, s18, v8
	v_lshrrev_b32_e32 v1, 16, v1
	v_lshl_or_b32 v5, v5, 9, v2
	v_cndmask_b32_e32 v0, v7, v0, vcc
	v_cmp_eq_u32_e32 vcc, s18, v10
	v_lshrrev_b32_e32 v6, 16, v6
	v_cndmask_b32_e32 v5, v9, v5, vcc
	v_and_or_b32 v0, v1, s17, v0
	v_and_or_b32 v1, v6, s17, v5
	v_and_b32_e32 v0, 0xffff, v0
	v_lshl_or_b32 v0, v1, 16, v0
	global_store_dword v[3:4], v0, off
	global_load_dword v5, v41, s[6:7] offset:3528
	v_add_u32_e32 v0, 0xc00, v42
	ds_read2_b32 v[0:1], v0 offset0:114 offset1:212
	v_add_co_u32_e32 v3, vcc, s8, v3
	s_waitcnt lgkmcnt(0)
	v_lshrrev_b32_e32 v6, 16, v0
	s_waitcnt vmcnt(0)
	v_mul_f16_sdwa v7, v6, v5 dst_sel:DWORD dst_unused:UNUSED_PAD src0_sel:DWORD src1_sel:WORD_1
	v_fma_f16 v7, v0, v5, v7
	v_mul_f16_sdwa v0, v0, v5 dst_sel:DWORD dst_unused:UNUSED_PAD src0_sel:DWORD src1_sel:WORD_1
	v_cvt_f32_f16_e32 v7, v7
	v_fma_f16 v0, v5, v6, -v0
	v_cvt_f32_f16_e32 v0, v0
	v_cvt_f64_f32_e32 v[5:6], v7
	v_cvt_f64_f32_e32 v[7:8], v0
	v_mov_b32_e32 v0, s9
	v_mul_f64 v[5:6], v[5:6], s[14:15]
	v_addc_co_u32_e32 v4, vcc, v4, v0, vcc
	v_mul_f64 v[7:8], v[7:8], s[14:15]
	v_and_or_b32 v0, v6, s16, v5
	v_cmp_ne_u32_e32 vcc, 0, v0
	v_lshrrev_b32_e32 v5, 8, v6
	v_and_or_b32 v7, v8, s16, v7
	v_bfe_u32 v9, v6, 20, 11
	v_cndmask_b32_e64 v0, 0, 1, vcc
	v_cmp_ne_u32_e32 vcc, 0, v7
	v_lshrrev_b32_e32 v10, 8, v8
	v_bfe_u32 v11, v8, 20, 11
	v_sub_u32_e32 v12, 0x3f1, v9
	v_cndmask_b32_e64 v7, 0, 1, vcc
	v_and_or_b32 v0, v5, s10, v0
	v_sub_u32_e32 v13, 0x3f1, v11
	v_med3_i32 v5, v12, 0, 13
	v_and_or_b32 v7, v10, s10, v7
	v_or_b32_e32 v12, 0x1000, v0
	v_add_u32_e32 v9, 0xfffffc10, v9
	v_med3_i32 v10, v13, 0, 13
	v_cmp_ne_u32_e32 vcc, 0, v0
	v_or_b32_e32 v14, 0x1000, v7
	v_lshrrev_b32_e32 v16, v5, v12
	v_add_u32_e32 v11, 0xfffffc10, v11
	v_lshl_or_b32 v13, v9, 12, v0
	v_cndmask_b32_e64 v0, 0, 1, vcc
	v_cmp_ne_u32_e32 vcc, 0, v7
	v_lshrrev_b32_e32 v17, v10, v14
	v_lshlrev_b32_e32 v5, v5, v16
	v_lshl_or_b32 v15, v11, 12, v7
	v_cndmask_b32_e64 v7, 0, 1, vcc
	v_lshlrev_b32_e32 v10, v10, v17
	v_cmp_ne_u32_e32 vcc, v5, v12
	v_cndmask_b32_e64 v5, 0, 1, vcc
	v_cmp_ne_u32_e32 vcc, v10, v14
	v_cndmask_b32_e64 v10, 0, 1, vcc
	v_or_b32_e32 v5, v16, v5
	v_cmp_gt_i32_e32 vcc, 1, v9
	v_cndmask_b32_e32 v5, v13, v5, vcc
	v_or_b32_e32 v10, v17, v10
	v_cmp_gt_i32_e32 vcc, 1, v11
	v_and_b32_e32 v12, 7, v5
	v_cndmask_b32_e32 v10, v15, v10, vcc
	v_cmp_lt_i32_e32 vcc, 5, v12
	v_cmp_eq_u32_e64 s[0:1], 3, v12
	v_lshrrev_b32_e32 v5, 2, v5
	v_and_b32_e32 v13, 7, v10
	s_or_b64 vcc, s[0:1], vcc
	v_cmp_lt_i32_e64 s[2:3], 5, v13
	v_cmp_eq_u32_e64 s[4:5], 3, v13
	v_addc_co_u32_e32 v5, vcc, 0, v5, vcc
	v_lshrrev_b32_e32 v10, 2, v10
	s_or_b64 vcc, s[4:5], s[2:3]
	v_addc_co_u32_e32 v10, vcc, 0, v10, vcc
	v_cmp_gt_i32_e32 vcc, 31, v9
	v_cndmask_b32_e32 v5, v2, v5, vcc
	v_cmp_gt_i32_e32 vcc, 31, v11
	v_lshl_or_b32 v0, v0, 9, v2
	v_cndmask_b32_e32 v10, v2, v10, vcc
	v_cmp_eq_u32_e32 vcc, s18, v9
	v_lshrrev_b32_e32 v6, 16, v6
	v_lshl_or_b32 v7, v7, 9, v2
	v_cndmask_b32_e32 v0, v5, v0, vcc
	v_cmp_eq_u32_e32 vcc, s18, v11
	v_lshrrev_b32_e32 v8, 16, v8
	v_cndmask_b32_e32 v5, v10, v7, vcc
	v_and_or_b32 v0, v6, s17, v0
	v_and_or_b32 v5, v8, s17, v5
	v_and_b32_e32 v0, 0xffff, v0
	v_lshl_or_b32 v0, v5, 16, v0
	global_store_dword v[3:4], v0, off
	global_load_dword v0, v41, s[6:7] offset:3920
	v_lshrrev_b32_e32 v6, 16, v1
	v_mov_b32_e32 v5, s7
	v_add_co_u32_e32 v9, vcc, s6, v41
	v_addc_co_u32_e32 v10, vcc, 0, v5, vcc
	s_movk_i32 s0, 0x1000
	v_mov_b32_e32 v11, s9
	s_waitcnt vmcnt(0)
	v_mul_f16_sdwa v7, v6, v0 dst_sel:DWORD dst_unused:UNUSED_PAD src0_sel:DWORD src1_sel:WORD_1
	v_fma_f16 v7, v1, v0, v7
	v_mul_f16_sdwa v1, v1, v0 dst_sel:DWORD dst_unused:UNUSED_PAD src0_sel:DWORD src1_sel:WORD_1
	v_cvt_f32_f16_e32 v7, v7
	v_fma_f16 v0, v0, v6, -v1
	v_cvt_f32_f16_e32 v6, v0
	v_cvt_f64_f32_e32 v[0:1], v7
	v_cvt_f64_f32_e32 v[5:6], v6
	v_mul_f64 v[7:8], v[0:1], s[14:15]
	v_add_co_u32_e32 v0, vcc, s0, v9
	v_mul_f64 v[5:6], v[5:6], s[14:15]
	v_addc_co_u32_e32 v1, vcc, 0, v10, vcc
	v_add_co_u32_e32 v3, vcc, s8, v3
	v_addc_co_u32_e32 v4, vcc, v4, v11, vcc
	v_and_or_b32 v7, v8, s16, v7
	v_and_or_b32 v5, v6, s16, v5
	v_cmp_ne_u32_e32 vcc, 0, v7
	v_lshrrev_b32_e32 v9, 8, v8
	v_bfe_u32 v10, v8, 20, 11
	v_cndmask_b32_e64 v7, 0, 1, vcc
	v_cmp_ne_u32_e32 vcc, 0, v5
	v_lshrrev_b32_e32 v11, 8, v6
	v_bfe_u32 v12, v6, 20, 11
	v_sub_u32_e32 v13, 0x3f1, v10
	v_cndmask_b32_e64 v5, 0, 1, vcc
	v_and_or_b32 v7, v9, s10, v7
	v_sub_u32_e32 v14, 0x3f1, v12
	v_med3_i32 v9, v13, 0, 13
	v_and_or_b32 v5, v11, s10, v5
	v_or_b32_e32 v13, 0x1000, v7
	v_add_u32_e32 v10, 0xfffffc10, v10
	v_med3_i32 v11, v14, 0, 13
	v_cmp_ne_u32_e32 vcc, 0, v7
	v_or_b32_e32 v15, 0x1000, v5
	v_lshrrev_b32_e32 v17, v9, v13
	v_add_u32_e32 v12, 0xfffffc10, v12
	v_lshl_or_b32 v14, v10, 12, v7
	v_cndmask_b32_e64 v7, 0, 1, vcc
	v_cmp_ne_u32_e32 vcc, 0, v5
	v_lshrrev_b32_e32 v18, v11, v15
	v_lshlrev_b32_e32 v9, v9, v17
	v_lshl_or_b32 v16, v12, 12, v5
	v_cndmask_b32_e64 v5, 0, 1, vcc
	v_lshlrev_b32_e32 v11, v11, v18
	v_cmp_ne_u32_e32 vcc, v9, v13
	v_cndmask_b32_e64 v9, 0, 1, vcc
	v_cmp_ne_u32_e32 vcc, v11, v15
	v_cndmask_b32_e64 v11, 0, 1, vcc
	v_or_b32_e32 v9, v17, v9
	v_cmp_gt_i32_e32 vcc, 1, v10
	v_cndmask_b32_e32 v9, v14, v9, vcc
	v_or_b32_e32 v11, v18, v11
	v_cmp_gt_i32_e32 vcc, 1, v12
	v_and_b32_e32 v13, 7, v9
	v_cndmask_b32_e32 v11, v16, v11, vcc
	v_cmp_lt_i32_e32 vcc, 5, v13
	v_cmp_eq_u32_e64 s[0:1], 3, v13
	v_lshrrev_b32_e32 v9, 2, v9
	v_and_b32_e32 v14, 7, v11
	s_or_b64 vcc, s[0:1], vcc
	v_cmp_lt_i32_e64 s[2:3], 5, v14
	v_cmp_eq_u32_e64 s[4:5], 3, v14
	v_addc_co_u32_e32 v9, vcc, 0, v9, vcc
	v_lshrrev_b32_e32 v11, 2, v11
	s_or_b64 vcc, s[4:5], s[2:3]
	v_addc_co_u32_e32 v11, vcc, 0, v11, vcc
	v_cmp_gt_i32_e32 vcc, 31, v10
	v_cndmask_b32_e32 v9, v2, v9, vcc
	v_cmp_gt_i32_e32 vcc, 31, v12
	v_lshl_or_b32 v7, v7, 9, v2
	v_cndmask_b32_e32 v11, v2, v11, vcc
	v_cmp_eq_u32_e32 vcc, s18, v10
	v_lshrrev_b32_e32 v8, 16, v8
	v_lshl_or_b32 v5, v5, 9, v2
	v_cndmask_b32_e32 v7, v9, v7, vcc
	v_cmp_eq_u32_e32 vcc, s18, v12
	v_lshrrev_b32_e32 v6, 16, v6
	v_cndmask_b32_e32 v5, v11, v5, vcc
	v_and_or_b32 v7, v8, s17, v7
	v_and_or_b32 v5, v6, s17, v5
	v_and_b32_e32 v6, 0xffff, v7
	v_lshl_or_b32 v5, v5, 16, v6
	global_store_dword v[3:4], v5, off
	global_load_dword v7, v[0:1], off offset:216
	v_add_u32_e32 v5, 0x1000, v42
	ds_read2_b32 v[5:6], v5 offset0:54 offset1:152
	v_add_co_u32_e32 v3, vcc, s8, v3
	s_waitcnt lgkmcnt(0)
	v_lshrrev_b32_e32 v8, 16, v5
	s_waitcnt vmcnt(0)
	v_mul_f16_sdwa v9, v8, v7 dst_sel:DWORD dst_unused:UNUSED_PAD src0_sel:DWORD src1_sel:WORD_1
	v_fma_f16 v9, v5, v7, v9
	v_mul_f16_sdwa v5, v5, v7 dst_sel:DWORD dst_unused:UNUSED_PAD src0_sel:DWORD src1_sel:WORD_1
	v_cvt_f32_f16_e32 v9, v9
	v_fma_f16 v5, v7, v8, -v5
	v_cvt_f32_f16_e32 v5, v5
	v_cvt_f64_f32_e32 v[7:8], v9
	v_cvt_f64_f32_e32 v[9:10], v5
	v_mov_b32_e32 v5, s9
	v_mul_f64 v[7:8], v[7:8], s[14:15]
	v_addc_co_u32_e32 v4, vcc, v4, v5, vcc
	v_mul_f64 v[9:10], v[9:10], s[14:15]
	v_and_or_b32 v5, v8, s16, v7
	v_cmp_ne_u32_e32 vcc, 0, v5
	v_lshrrev_b32_e32 v7, 8, v8
	v_and_or_b32 v9, v10, s16, v9
	v_bfe_u32 v11, v8, 20, 11
	v_cndmask_b32_e64 v5, 0, 1, vcc
	v_cmp_ne_u32_e32 vcc, 0, v9
	v_lshrrev_b32_e32 v12, 8, v10
	v_bfe_u32 v13, v10, 20, 11
	v_sub_u32_e32 v14, 0x3f1, v11
	v_cndmask_b32_e64 v9, 0, 1, vcc
	v_and_or_b32 v5, v7, s10, v5
	v_sub_u32_e32 v15, 0x3f1, v13
	v_med3_i32 v7, v14, 0, 13
	v_and_or_b32 v9, v12, s10, v9
	v_or_b32_e32 v14, 0x1000, v5
	v_add_u32_e32 v11, 0xfffffc10, v11
	v_med3_i32 v12, v15, 0, 13
	v_cmp_ne_u32_e32 vcc, 0, v5
	v_or_b32_e32 v16, 0x1000, v9
	v_lshrrev_b32_e32 v18, v7, v14
	v_add_u32_e32 v13, 0xfffffc10, v13
	v_lshl_or_b32 v15, v11, 12, v5
	v_cndmask_b32_e64 v5, 0, 1, vcc
	v_cmp_ne_u32_e32 vcc, 0, v9
	v_lshrrev_b32_e32 v19, v12, v16
	v_lshlrev_b32_e32 v7, v7, v18
	v_lshl_or_b32 v17, v13, 12, v9
	v_cndmask_b32_e64 v9, 0, 1, vcc
	v_lshlrev_b32_e32 v12, v12, v19
	v_cmp_ne_u32_e32 vcc, v7, v14
	v_cndmask_b32_e64 v7, 0, 1, vcc
	v_cmp_ne_u32_e32 vcc, v12, v16
	v_cndmask_b32_e64 v12, 0, 1, vcc
	v_or_b32_e32 v7, v18, v7
	v_cmp_gt_i32_e32 vcc, 1, v11
	v_cndmask_b32_e32 v7, v15, v7, vcc
	v_or_b32_e32 v12, v19, v12
	v_cmp_gt_i32_e32 vcc, 1, v13
	v_and_b32_e32 v14, 7, v7
	v_cndmask_b32_e32 v12, v17, v12, vcc
	v_cmp_lt_i32_e32 vcc, 5, v14
	v_cmp_eq_u32_e64 s[0:1], 3, v14
	v_lshrrev_b32_e32 v7, 2, v7
	v_and_b32_e32 v15, 7, v12
	s_or_b64 vcc, s[0:1], vcc
	v_cmp_lt_i32_e64 s[2:3], 5, v15
	v_cmp_eq_u32_e64 s[4:5], 3, v15
	v_addc_co_u32_e32 v7, vcc, 0, v7, vcc
	v_lshrrev_b32_e32 v12, 2, v12
	s_or_b64 vcc, s[4:5], s[2:3]
	v_addc_co_u32_e32 v12, vcc, 0, v12, vcc
	v_cmp_gt_i32_e32 vcc, 31, v11
	v_cndmask_b32_e32 v7, v2, v7, vcc
	v_cmp_gt_i32_e32 vcc, 31, v13
	v_lshl_or_b32 v5, v5, 9, v2
	v_cndmask_b32_e32 v12, v2, v12, vcc
	v_cmp_eq_u32_e32 vcc, s18, v11
	v_lshrrev_b32_e32 v8, 16, v8
	v_lshl_or_b32 v9, v9, 9, v2
	v_cndmask_b32_e32 v5, v7, v5, vcc
	v_cmp_eq_u32_e32 vcc, s18, v13
	v_lshrrev_b32_e32 v10, 16, v10
	v_cndmask_b32_e32 v7, v12, v9, vcc
	v_and_or_b32 v5, v8, s17, v5
	v_and_or_b32 v7, v10, s17, v7
	v_and_b32_e32 v5, 0xffff, v5
	v_lshl_or_b32 v5, v7, 16, v5
	global_store_dword v[3:4], v5, off
	global_load_dword v5, v[0:1], off offset:608
	v_lshrrev_b32_e32 v7, 16, v6
	v_mov_b32_e32 v9, s9
	v_add_co_u32_e32 v3, vcc, s8, v3
	v_addc_co_u32_e32 v4, vcc, v4, v9, vcc
	s_waitcnt vmcnt(0)
	v_mul_f16_sdwa v8, v7, v5 dst_sel:DWORD dst_unused:UNUSED_PAD src0_sel:DWORD src1_sel:WORD_1
	v_fma_f16 v8, v6, v5, v8
	v_mul_f16_sdwa v6, v6, v5 dst_sel:DWORD dst_unused:UNUSED_PAD src0_sel:DWORD src1_sel:WORD_1
	v_cvt_f32_f16_e32 v8, v8
	v_fma_f16 v5, v5, v7, -v6
	v_cvt_f32_f16_e32 v7, v5
	v_cvt_f64_f32_e32 v[5:6], v8
	v_cvt_f64_f32_e32 v[7:8], v7
	v_mul_f64 v[5:6], v[5:6], s[14:15]
	v_mul_f64 v[7:8], v[7:8], s[14:15]
	v_and_or_b32 v5, v6, s16, v5
	v_cmp_ne_u32_e32 vcc, 0, v5
	v_and_or_b32 v7, v8, s16, v7
	v_lshrrev_b32_e32 v9, 8, v6
	v_bfe_u32 v10, v6, 20, 11
	v_cndmask_b32_e64 v5, 0, 1, vcc
	v_cmp_ne_u32_e32 vcc, 0, v7
	v_lshrrev_b32_e32 v11, 8, v8
	v_bfe_u32 v12, v8, 20, 11
	v_sub_u32_e32 v13, 0x3f1, v10
	v_cndmask_b32_e64 v7, 0, 1, vcc
	v_and_or_b32 v5, v9, s10, v5
	v_sub_u32_e32 v14, 0x3f1, v12
	v_med3_i32 v9, v13, 0, 13
	v_and_or_b32 v7, v11, s10, v7
	v_or_b32_e32 v13, 0x1000, v5
	v_add_u32_e32 v10, 0xfffffc10, v10
	v_med3_i32 v11, v14, 0, 13
	v_cmp_ne_u32_e32 vcc, 0, v5
	v_or_b32_e32 v15, 0x1000, v7
	v_lshrrev_b32_e32 v17, v9, v13
	v_add_u32_e32 v12, 0xfffffc10, v12
	v_lshl_or_b32 v14, v10, 12, v5
	v_cndmask_b32_e64 v5, 0, 1, vcc
	v_cmp_ne_u32_e32 vcc, 0, v7
	v_lshrrev_b32_e32 v18, v11, v15
	v_lshlrev_b32_e32 v9, v9, v17
	v_lshl_or_b32 v16, v12, 12, v7
	v_cndmask_b32_e64 v7, 0, 1, vcc
	v_lshlrev_b32_e32 v11, v11, v18
	v_cmp_ne_u32_e32 vcc, v9, v13
	v_cndmask_b32_e64 v9, 0, 1, vcc
	v_cmp_ne_u32_e32 vcc, v11, v15
	v_cndmask_b32_e64 v11, 0, 1, vcc
	v_or_b32_e32 v9, v17, v9
	v_cmp_gt_i32_e32 vcc, 1, v10
	v_cndmask_b32_e32 v9, v14, v9, vcc
	v_or_b32_e32 v11, v18, v11
	v_cmp_gt_i32_e32 vcc, 1, v12
	v_and_b32_e32 v13, 7, v9
	v_cndmask_b32_e32 v11, v16, v11, vcc
	v_cmp_lt_i32_e32 vcc, 5, v13
	v_cmp_eq_u32_e64 s[0:1], 3, v13
	v_lshrrev_b32_e32 v9, 2, v9
	v_and_b32_e32 v14, 7, v11
	s_or_b64 vcc, s[0:1], vcc
	v_cmp_lt_i32_e64 s[2:3], 5, v14
	v_cmp_eq_u32_e64 s[4:5], 3, v14
	v_addc_co_u32_e32 v9, vcc, 0, v9, vcc
	v_lshrrev_b32_e32 v11, 2, v11
	s_or_b64 vcc, s[4:5], s[2:3]
	v_addc_co_u32_e32 v11, vcc, 0, v11, vcc
	v_cmp_gt_i32_e32 vcc, 31, v10
	v_cndmask_b32_e32 v9, v2, v9, vcc
	v_cmp_gt_i32_e32 vcc, 31, v12
	v_lshl_or_b32 v5, v5, 9, v2
	v_cndmask_b32_e32 v11, v2, v11, vcc
	v_cmp_eq_u32_e32 vcc, s18, v10
	v_lshrrev_b32_e32 v6, 16, v6
	v_lshl_or_b32 v7, v7, 9, v2
	v_cndmask_b32_e32 v5, v9, v5, vcc
	v_cmp_eq_u32_e32 vcc, s18, v12
	v_lshrrev_b32_e32 v8, 16, v8
	v_cndmask_b32_e32 v7, v11, v7, vcc
	v_and_or_b32 v5, v6, s17, v5
	v_and_or_b32 v6, v8, s17, v7
	v_and_b32_e32 v5, 0xffff, v5
	v_lshl_or_b32 v5, v6, 16, v5
	global_store_dword v[3:4], v5, off
	global_load_dword v7, v[0:1], off offset:1000
	v_add_u32_e32 v5, 0x1200, v42
	ds_read2_b32 v[5:6], v5 offset0:122 offset1:220
	v_add_co_u32_e32 v3, vcc, s8, v3
	s_waitcnt lgkmcnt(0)
	v_lshrrev_b32_e32 v8, 16, v5
	s_waitcnt vmcnt(0)
	v_mul_f16_sdwa v9, v8, v7 dst_sel:DWORD dst_unused:UNUSED_PAD src0_sel:DWORD src1_sel:WORD_1
	v_fma_f16 v9, v5, v7, v9
	v_mul_f16_sdwa v5, v5, v7 dst_sel:DWORD dst_unused:UNUSED_PAD src0_sel:DWORD src1_sel:WORD_1
	v_cvt_f32_f16_e32 v9, v9
	v_fma_f16 v5, v7, v8, -v5
	v_cvt_f32_f16_e32 v5, v5
	v_cvt_f64_f32_e32 v[7:8], v9
	v_cvt_f64_f32_e32 v[9:10], v5
	v_mov_b32_e32 v5, s9
	v_mul_f64 v[7:8], v[7:8], s[14:15]
	v_addc_co_u32_e32 v4, vcc, v4, v5, vcc
	v_mul_f64 v[9:10], v[9:10], s[14:15]
	v_and_or_b32 v5, v8, s16, v7
	v_cmp_ne_u32_e32 vcc, 0, v5
	v_lshrrev_b32_e32 v7, 8, v8
	v_and_or_b32 v9, v10, s16, v9
	v_bfe_u32 v11, v8, 20, 11
	v_cndmask_b32_e64 v5, 0, 1, vcc
	v_cmp_ne_u32_e32 vcc, 0, v9
	v_lshrrev_b32_e32 v12, 8, v10
	v_bfe_u32 v13, v10, 20, 11
	v_sub_u32_e32 v14, 0x3f1, v11
	v_cndmask_b32_e64 v9, 0, 1, vcc
	v_and_or_b32 v5, v7, s10, v5
	v_sub_u32_e32 v15, 0x3f1, v13
	v_med3_i32 v7, v14, 0, 13
	v_and_or_b32 v9, v12, s10, v9
	v_or_b32_e32 v14, 0x1000, v5
	v_add_u32_e32 v11, 0xfffffc10, v11
	v_med3_i32 v12, v15, 0, 13
	v_cmp_ne_u32_e32 vcc, 0, v5
	v_or_b32_e32 v16, 0x1000, v9
	v_lshrrev_b32_e32 v18, v7, v14
	v_add_u32_e32 v13, 0xfffffc10, v13
	v_lshl_or_b32 v15, v11, 12, v5
	v_cndmask_b32_e64 v5, 0, 1, vcc
	v_cmp_ne_u32_e32 vcc, 0, v9
	v_lshrrev_b32_e32 v19, v12, v16
	v_lshlrev_b32_e32 v7, v7, v18
	v_lshl_or_b32 v17, v13, 12, v9
	v_cndmask_b32_e64 v9, 0, 1, vcc
	v_lshlrev_b32_e32 v12, v12, v19
	v_cmp_ne_u32_e32 vcc, v7, v14
	v_cndmask_b32_e64 v7, 0, 1, vcc
	v_cmp_ne_u32_e32 vcc, v12, v16
	v_cndmask_b32_e64 v12, 0, 1, vcc
	v_or_b32_e32 v7, v18, v7
	v_cmp_gt_i32_e32 vcc, 1, v11
	v_cndmask_b32_e32 v7, v15, v7, vcc
	v_or_b32_e32 v12, v19, v12
	v_cmp_gt_i32_e32 vcc, 1, v13
	v_and_b32_e32 v14, 7, v7
	v_cndmask_b32_e32 v12, v17, v12, vcc
	v_cmp_lt_i32_e32 vcc, 5, v14
	v_cmp_eq_u32_e64 s[0:1], 3, v14
	v_lshrrev_b32_e32 v7, 2, v7
	v_and_b32_e32 v15, 7, v12
	s_or_b64 vcc, s[0:1], vcc
	v_cmp_lt_i32_e64 s[2:3], 5, v15
	v_cmp_eq_u32_e64 s[4:5], 3, v15
	v_addc_co_u32_e32 v7, vcc, 0, v7, vcc
	v_lshrrev_b32_e32 v12, 2, v12
	s_or_b64 vcc, s[4:5], s[2:3]
	v_addc_co_u32_e32 v12, vcc, 0, v12, vcc
	v_cmp_gt_i32_e32 vcc, 31, v11
	v_cndmask_b32_e32 v7, v2, v7, vcc
	v_cmp_gt_i32_e32 vcc, 31, v13
	v_lshl_or_b32 v5, v5, 9, v2
	v_cndmask_b32_e32 v12, v2, v12, vcc
	v_cmp_eq_u32_e32 vcc, s18, v11
	v_lshrrev_b32_e32 v8, 16, v8
	v_lshl_or_b32 v9, v9, 9, v2
	v_cndmask_b32_e32 v5, v7, v5, vcc
	v_cmp_eq_u32_e32 vcc, s18, v13
	v_lshrrev_b32_e32 v10, 16, v10
	v_cndmask_b32_e32 v7, v12, v9, vcc
	v_and_or_b32 v5, v8, s17, v5
	v_and_or_b32 v7, v10, s17, v7
	v_and_b32_e32 v5, 0xffff, v5
	v_lshl_or_b32 v5, v7, 16, v5
	global_store_dword v[3:4], v5, off
	global_load_dword v5, v[0:1], off offset:1392
	v_lshrrev_b32_e32 v7, 16, v6
	v_mov_b32_e32 v9, s9
	v_add_co_u32_e32 v3, vcc, s8, v3
	v_addc_co_u32_e32 v4, vcc, v4, v9, vcc
	s_waitcnt vmcnt(0)
	v_mul_f16_sdwa v8, v7, v5 dst_sel:DWORD dst_unused:UNUSED_PAD src0_sel:DWORD src1_sel:WORD_1
	v_fma_f16 v8, v6, v5, v8
	v_mul_f16_sdwa v6, v6, v5 dst_sel:DWORD dst_unused:UNUSED_PAD src0_sel:DWORD src1_sel:WORD_1
	v_cvt_f32_f16_e32 v8, v8
	v_fma_f16 v5, v5, v7, -v6
	v_cvt_f32_f16_e32 v7, v5
	v_cvt_f64_f32_e32 v[5:6], v8
	v_cvt_f64_f32_e32 v[7:8], v7
	v_mul_f64 v[5:6], v[5:6], s[14:15]
	v_mul_f64 v[7:8], v[7:8], s[14:15]
	v_and_or_b32 v5, v6, s16, v5
	v_cmp_ne_u32_e32 vcc, 0, v5
	v_and_or_b32 v7, v8, s16, v7
	v_lshrrev_b32_e32 v9, 8, v6
	v_bfe_u32 v10, v6, 20, 11
	v_cndmask_b32_e64 v5, 0, 1, vcc
	v_cmp_ne_u32_e32 vcc, 0, v7
	v_lshrrev_b32_e32 v11, 8, v8
	v_bfe_u32 v12, v8, 20, 11
	v_sub_u32_e32 v13, 0x3f1, v10
	v_cndmask_b32_e64 v7, 0, 1, vcc
	v_and_or_b32 v5, v9, s10, v5
	v_sub_u32_e32 v14, 0x3f1, v12
	v_med3_i32 v9, v13, 0, 13
	v_and_or_b32 v7, v11, s10, v7
	v_or_b32_e32 v13, 0x1000, v5
	v_add_u32_e32 v10, 0xfffffc10, v10
	v_med3_i32 v11, v14, 0, 13
	v_cmp_ne_u32_e32 vcc, 0, v5
	v_or_b32_e32 v15, 0x1000, v7
	v_lshrrev_b32_e32 v17, v9, v13
	v_add_u32_e32 v12, 0xfffffc10, v12
	v_lshl_or_b32 v14, v10, 12, v5
	v_cndmask_b32_e64 v5, 0, 1, vcc
	v_cmp_ne_u32_e32 vcc, 0, v7
	v_lshrrev_b32_e32 v18, v11, v15
	v_lshlrev_b32_e32 v9, v9, v17
	v_lshl_or_b32 v16, v12, 12, v7
	v_cndmask_b32_e64 v7, 0, 1, vcc
	v_lshlrev_b32_e32 v11, v11, v18
	v_cmp_ne_u32_e32 vcc, v9, v13
	v_cndmask_b32_e64 v9, 0, 1, vcc
	v_cmp_ne_u32_e32 vcc, v11, v15
	v_cndmask_b32_e64 v11, 0, 1, vcc
	v_or_b32_e32 v9, v17, v9
	v_cmp_gt_i32_e32 vcc, 1, v10
	v_cndmask_b32_e32 v9, v14, v9, vcc
	v_or_b32_e32 v11, v18, v11
	v_cmp_gt_i32_e32 vcc, 1, v12
	v_and_b32_e32 v13, 7, v9
	v_cndmask_b32_e32 v11, v16, v11, vcc
	v_cmp_lt_i32_e32 vcc, 5, v13
	v_cmp_eq_u32_e64 s[0:1], 3, v13
	v_lshrrev_b32_e32 v9, 2, v9
	v_and_b32_e32 v14, 7, v11
	s_or_b64 vcc, s[0:1], vcc
	v_cmp_lt_i32_e64 s[2:3], 5, v14
	v_cmp_eq_u32_e64 s[4:5], 3, v14
	v_addc_co_u32_e32 v9, vcc, 0, v9, vcc
	v_lshrrev_b32_e32 v11, 2, v11
	s_or_b64 vcc, s[4:5], s[2:3]
	v_addc_co_u32_e32 v11, vcc, 0, v11, vcc
	v_cmp_gt_i32_e32 vcc, 31, v10
	v_cndmask_b32_e32 v9, v2, v9, vcc
	v_cmp_gt_i32_e32 vcc, 31, v12
	v_lshl_or_b32 v5, v5, 9, v2
	v_cndmask_b32_e32 v11, v2, v11, vcc
	v_cmp_eq_u32_e32 vcc, s18, v10
	v_lshrrev_b32_e32 v6, 16, v6
	v_lshl_or_b32 v7, v7, 9, v2
	v_cndmask_b32_e32 v5, v9, v5, vcc
	v_cmp_eq_u32_e32 vcc, s18, v12
	v_lshrrev_b32_e32 v8, 16, v8
	v_cndmask_b32_e32 v7, v11, v7, vcc
	v_and_or_b32 v5, v6, s17, v5
	v_and_or_b32 v6, v8, s17, v7
	v_and_b32_e32 v5, 0xffff, v5
	v_lshl_or_b32 v5, v6, 16, v5
	global_store_dword v[3:4], v5, off
	global_load_dword v7, v[0:1], off offset:1784
	v_add_u32_e32 v5, 0x1600, v42
	ds_read2_b32 v[5:6], v5 offset0:62 offset1:160
	v_add_co_u32_e32 v3, vcc, s8, v3
	s_waitcnt lgkmcnt(0)
	v_lshrrev_b32_e32 v8, 16, v5
	s_waitcnt vmcnt(0)
	v_mul_f16_sdwa v9, v8, v7 dst_sel:DWORD dst_unused:UNUSED_PAD src0_sel:DWORD src1_sel:WORD_1
	v_fma_f16 v9, v5, v7, v9
	v_mul_f16_sdwa v5, v5, v7 dst_sel:DWORD dst_unused:UNUSED_PAD src0_sel:DWORD src1_sel:WORD_1
	v_cvt_f32_f16_e32 v9, v9
	v_fma_f16 v5, v7, v8, -v5
	v_cvt_f32_f16_e32 v5, v5
	v_cvt_f64_f32_e32 v[7:8], v9
	v_cvt_f64_f32_e32 v[9:10], v5
	v_mov_b32_e32 v5, s9
	v_mul_f64 v[7:8], v[7:8], s[14:15]
	v_addc_co_u32_e32 v4, vcc, v4, v5, vcc
	v_mul_f64 v[9:10], v[9:10], s[14:15]
	v_and_or_b32 v5, v8, s16, v7
	v_cmp_ne_u32_e32 vcc, 0, v5
	v_lshrrev_b32_e32 v7, 8, v8
	v_and_or_b32 v9, v10, s16, v9
	v_bfe_u32 v11, v8, 20, 11
	v_cndmask_b32_e64 v5, 0, 1, vcc
	v_cmp_ne_u32_e32 vcc, 0, v9
	v_lshrrev_b32_e32 v12, 8, v10
	v_bfe_u32 v13, v10, 20, 11
	v_sub_u32_e32 v14, 0x3f1, v11
	v_cndmask_b32_e64 v9, 0, 1, vcc
	v_and_or_b32 v5, v7, s10, v5
	v_sub_u32_e32 v15, 0x3f1, v13
	v_med3_i32 v7, v14, 0, 13
	v_and_or_b32 v9, v12, s10, v9
	v_or_b32_e32 v14, 0x1000, v5
	v_add_u32_e32 v11, 0xfffffc10, v11
	v_med3_i32 v12, v15, 0, 13
	v_cmp_ne_u32_e32 vcc, 0, v5
	v_or_b32_e32 v16, 0x1000, v9
	v_lshrrev_b32_e32 v18, v7, v14
	v_add_u32_e32 v13, 0xfffffc10, v13
	v_lshl_or_b32 v15, v11, 12, v5
	v_cndmask_b32_e64 v5, 0, 1, vcc
	v_cmp_ne_u32_e32 vcc, 0, v9
	v_lshrrev_b32_e32 v19, v12, v16
	v_lshlrev_b32_e32 v7, v7, v18
	v_lshl_or_b32 v17, v13, 12, v9
	v_cndmask_b32_e64 v9, 0, 1, vcc
	v_lshlrev_b32_e32 v12, v12, v19
	v_cmp_ne_u32_e32 vcc, v7, v14
	v_cndmask_b32_e64 v7, 0, 1, vcc
	v_cmp_ne_u32_e32 vcc, v12, v16
	v_cndmask_b32_e64 v12, 0, 1, vcc
	v_or_b32_e32 v7, v18, v7
	v_cmp_gt_i32_e32 vcc, 1, v11
	v_cndmask_b32_e32 v7, v15, v7, vcc
	v_or_b32_e32 v12, v19, v12
	v_cmp_gt_i32_e32 vcc, 1, v13
	v_and_b32_e32 v14, 7, v7
	v_cndmask_b32_e32 v12, v17, v12, vcc
	v_cmp_lt_i32_e32 vcc, 5, v14
	v_cmp_eq_u32_e64 s[0:1], 3, v14
	v_lshrrev_b32_e32 v7, 2, v7
	v_and_b32_e32 v15, 7, v12
	s_or_b64 vcc, s[0:1], vcc
	v_cmp_lt_i32_e64 s[2:3], 5, v15
	v_cmp_eq_u32_e64 s[4:5], 3, v15
	v_addc_co_u32_e32 v7, vcc, 0, v7, vcc
	v_lshrrev_b32_e32 v12, 2, v12
	s_or_b64 vcc, s[4:5], s[2:3]
	v_addc_co_u32_e32 v12, vcc, 0, v12, vcc
	v_cmp_gt_i32_e32 vcc, 31, v11
	v_cndmask_b32_e32 v7, v2, v7, vcc
	v_cmp_gt_i32_e32 vcc, 31, v13
	v_lshl_or_b32 v5, v5, 9, v2
	v_cndmask_b32_e32 v12, v2, v12, vcc
	v_cmp_eq_u32_e32 vcc, s18, v11
	v_lshrrev_b32_e32 v8, 16, v8
	v_lshl_or_b32 v9, v9, 9, v2
	v_cndmask_b32_e32 v5, v7, v5, vcc
	v_cmp_eq_u32_e32 vcc, s18, v13
	v_lshrrev_b32_e32 v10, 16, v10
	v_cndmask_b32_e32 v7, v12, v9, vcc
	v_and_or_b32 v5, v8, s17, v5
	v_and_or_b32 v7, v10, s17, v7
	v_and_b32_e32 v5, 0xffff, v5
	v_lshl_or_b32 v5, v7, 16, v5
	global_store_dword v[3:4], v5, off
	global_load_dword v0, v[0:1], off offset:2176
	v_lshrrev_b32_e32 v1, 16, v6
	v_mov_b32_e32 v7, s9
	s_waitcnt vmcnt(0)
	v_mul_f16_sdwa v5, v1, v0 dst_sel:DWORD dst_unused:UNUSED_PAD src0_sel:DWORD src1_sel:WORD_1
	v_fma_f16 v5, v6, v0, v5
	v_mul_f16_sdwa v6, v6, v0 dst_sel:DWORD dst_unused:UNUSED_PAD src0_sel:DWORD src1_sel:WORD_1
	v_cvt_f32_f16_e32 v5, v5
	v_fma_f16 v0, v0, v1, -v6
	v_cvt_f32_f16_e32 v6, v0
	v_cvt_f64_f32_e32 v[0:1], v5
	v_cvt_f64_f32_e32 v[5:6], v6
	v_mul_f64 v[0:1], v[0:1], s[14:15]
	v_mul_f64 v[5:6], v[5:6], s[14:15]
	v_and_or_b32 v0, v1, s16, v0
	v_cmp_ne_u32_e32 vcc, 0, v0
	v_and_or_b32 v5, v6, s16, v5
	v_lshrrev_b32_e32 v8, 8, v1
	v_bfe_u32 v9, v1, 20, 11
	v_cndmask_b32_e64 v0, 0, 1, vcc
	v_cmp_ne_u32_e32 vcc, 0, v5
	v_lshrrev_b32_e32 v10, 8, v6
	v_bfe_u32 v11, v6, 20, 11
	v_sub_u32_e32 v12, 0x3f1, v9
	v_cndmask_b32_e64 v5, 0, 1, vcc
	v_and_or_b32 v0, v8, s10, v0
	v_sub_u32_e32 v13, 0x3f1, v11
	v_med3_i32 v8, v12, 0, 13
	v_and_or_b32 v5, v10, s10, v5
	v_or_b32_e32 v12, 0x1000, v0
	v_add_u32_e32 v9, 0xfffffc10, v9
	v_med3_i32 v10, v13, 0, 13
	v_cmp_ne_u32_e32 vcc, 0, v0
	v_or_b32_e32 v14, 0x1000, v5
	v_lshrrev_b32_e32 v16, v8, v12
	v_add_u32_e32 v11, 0xfffffc10, v11
	v_lshl_or_b32 v13, v9, 12, v0
	v_cndmask_b32_e64 v0, 0, 1, vcc
	v_cmp_ne_u32_e32 vcc, 0, v5
	v_lshrrev_b32_e32 v17, v10, v14
	v_lshlrev_b32_e32 v8, v8, v16
	v_lshl_or_b32 v15, v11, 12, v5
	v_cndmask_b32_e64 v5, 0, 1, vcc
	v_lshlrev_b32_e32 v10, v10, v17
	v_cmp_ne_u32_e32 vcc, v8, v12
	v_cndmask_b32_e64 v8, 0, 1, vcc
	v_cmp_ne_u32_e32 vcc, v10, v14
	v_cndmask_b32_e64 v10, 0, 1, vcc
	v_or_b32_e32 v8, v16, v8
	v_cmp_gt_i32_e32 vcc, 1, v9
	v_cndmask_b32_e32 v8, v13, v8, vcc
	v_or_b32_e32 v10, v17, v10
	v_cmp_gt_i32_e32 vcc, 1, v11
	v_and_b32_e32 v12, 7, v8
	v_cndmask_b32_e32 v10, v15, v10, vcc
	v_cmp_lt_i32_e32 vcc, 5, v12
	v_cmp_eq_u32_e64 s[0:1], 3, v12
	v_lshrrev_b32_e32 v8, 2, v8
	v_and_b32_e32 v13, 7, v10
	s_or_b64 vcc, s[0:1], vcc
	v_cmp_lt_i32_e64 s[2:3], 5, v13
	v_cmp_eq_u32_e64 s[4:5], 3, v13
	v_addc_co_u32_e32 v8, vcc, 0, v8, vcc
	v_lshrrev_b32_e32 v10, 2, v10
	s_or_b64 vcc, s[4:5], s[2:3]
	v_addc_co_u32_e32 v10, vcc, 0, v10, vcc
	v_cmp_gt_i32_e32 vcc, 31, v9
	v_cndmask_b32_e32 v8, v2, v8, vcc
	v_cmp_gt_i32_e32 vcc, 31, v11
	v_lshl_or_b32 v0, v0, 9, v2
	v_lshl_or_b32 v5, v5, 9, v2
	v_cndmask_b32_e32 v2, v2, v10, vcc
	v_cmp_eq_u32_e32 vcc, s18, v9
	v_lshrrev_b32_e32 v1, 16, v1
	v_cndmask_b32_e32 v0, v8, v0, vcc
	v_cmp_eq_u32_e32 vcc, s18, v11
	v_lshrrev_b32_e32 v6, 16, v6
	v_cndmask_b32_e32 v2, v2, v5, vcc
	v_and_or_b32 v0, v1, s17, v0
	v_and_or_b32 v1, v6, s17, v2
	v_and_b32_e32 v0, 0xffff, v0
	v_lshl_or_b32 v2, v1, 16, v0
	v_add_co_u32_e32 v0, vcc, s8, v3
	v_addc_co_u32_e32 v1, vcc, v4, v7, vcc
	global_store_dword v[0:1], v2, off
.LBB0_15:
	s_endpgm
	.section	.rodata,"a",@progbits
	.p2align	6, 0x0
	.amdhsa_kernel bluestein_single_fwd_len1666_dim1_half_op_CI_CI
		.amdhsa_group_segment_fixed_size 6664
		.amdhsa_private_segment_fixed_size 0
		.amdhsa_kernarg_size 104
		.amdhsa_user_sgpr_count 6
		.amdhsa_user_sgpr_private_segment_buffer 1
		.amdhsa_user_sgpr_dispatch_ptr 0
		.amdhsa_user_sgpr_queue_ptr 0
		.amdhsa_user_sgpr_kernarg_segment_ptr 1
		.amdhsa_user_sgpr_dispatch_id 0
		.amdhsa_user_sgpr_flat_scratch_init 0
		.amdhsa_user_sgpr_private_segment_size 0
		.amdhsa_uses_dynamic_stack 0
		.amdhsa_system_sgpr_private_segment_wavefront_offset 0
		.amdhsa_system_sgpr_workgroup_id_x 1
		.amdhsa_system_sgpr_workgroup_id_y 0
		.amdhsa_system_sgpr_workgroup_id_z 0
		.amdhsa_system_sgpr_workgroup_info 0
		.amdhsa_system_vgpr_workitem_id 0
		.amdhsa_next_free_vgpr 203
		.amdhsa_next_free_sgpr 46
		.amdhsa_reserve_vcc 1
		.amdhsa_reserve_flat_scratch 0
		.amdhsa_float_round_mode_32 0
		.amdhsa_float_round_mode_16_64 0
		.amdhsa_float_denorm_mode_32 3
		.amdhsa_float_denorm_mode_16_64 3
		.amdhsa_dx10_clamp 1
		.amdhsa_ieee_mode 1
		.amdhsa_fp16_overflow 0
		.amdhsa_exception_fp_ieee_invalid_op 0
		.amdhsa_exception_fp_denorm_src 0
		.amdhsa_exception_fp_ieee_div_zero 0
		.amdhsa_exception_fp_ieee_overflow 0
		.amdhsa_exception_fp_ieee_underflow 0
		.amdhsa_exception_fp_ieee_inexact 0
		.amdhsa_exception_int_div_zero 0
	.end_amdhsa_kernel
	.text
.Lfunc_end0:
	.size	bluestein_single_fwd_len1666_dim1_half_op_CI_CI, .Lfunc_end0-bluestein_single_fwd_len1666_dim1_half_op_CI_CI
                                        ; -- End function
	.section	.AMDGPU.csdata,"",@progbits
; Kernel info:
; codeLenInByte = 30132
; NumSgprs: 50
; NumVgprs: 203
; ScratchSize: 0
; MemoryBound: 0
; FloatMode: 240
; IeeeMode: 1
; LDSByteSize: 6664 bytes/workgroup (compile time only)
; SGPRBlocks: 6
; VGPRBlocks: 50
; NumSGPRsForWavesPerEU: 50
; NumVGPRsForWavesPerEU: 203
; Occupancy: 1
; WaveLimiterHint : 1
; COMPUTE_PGM_RSRC2:SCRATCH_EN: 0
; COMPUTE_PGM_RSRC2:USER_SGPR: 6
; COMPUTE_PGM_RSRC2:TRAP_HANDLER: 0
; COMPUTE_PGM_RSRC2:TGID_X_EN: 1
; COMPUTE_PGM_RSRC2:TGID_Y_EN: 0
; COMPUTE_PGM_RSRC2:TGID_Z_EN: 0
; COMPUTE_PGM_RSRC2:TIDIG_COMP_CNT: 0
	.type	__hip_cuid_aaa663b9dfd54e2e,@object ; @__hip_cuid_aaa663b9dfd54e2e
	.section	.bss,"aw",@nobits
	.globl	__hip_cuid_aaa663b9dfd54e2e
__hip_cuid_aaa663b9dfd54e2e:
	.byte	0                               ; 0x0
	.size	__hip_cuid_aaa663b9dfd54e2e, 1

	.ident	"AMD clang version 19.0.0git (https://github.com/RadeonOpenCompute/llvm-project roc-6.4.0 25133 c7fe45cf4b819c5991fe208aaa96edf142730f1d)"
	.section	".note.GNU-stack","",@progbits
	.addrsig
	.addrsig_sym __hip_cuid_aaa663b9dfd54e2e
	.amdgpu_metadata
---
amdhsa.kernels:
  - .args:
      - .actual_access:  read_only
        .address_space:  global
        .offset:         0
        .size:           8
        .value_kind:     global_buffer
      - .actual_access:  read_only
        .address_space:  global
        .offset:         8
        .size:           8
        .value_kind:     global_buffer
      - .actual_access:  read_only
        .address_space:  global
        .offset:         16
        .size:           8
        .value_kind:     global_buffer
      - .actual_access:  read_only
        .address_space:  global
        .offset:         24
        .size:           8
        .value_kind:     global_buffer
      - .actual_access:  read_only
        .address_space:  global
        .offset:         32
        .size:           8
        .value_kind:     global_buffer
      - .offset:         40
        .size:           8
        .value_kind:     by_value
      - .address_space:  global
        .offset:         48
        .size:           8
        .value_kind:     global_buffer
      - .address_space:  global
        .offset:         56
        .size:           8
        .value_kind:     global_buffer
      - .address_space:  global
        .offset:         64
        .size:           8
        .value_kind:     global_buffer
      - .address_space:  global
        .offset:         72
        .size:           8
        .value_kind:     global_buffer
      - .offset:         80
        .size:           4
        .value_kind:     by_value
      - .address_space:  global
        .offset:         88
        .size:           8
        .value_kind:     global_buffer
      - .address_space:  global
        .offset:         96
        .size:           8
        .value_kind:     global_buffer
    .group_segment_fixed_size: 6664
    .kernarg_segment_align: 8
    .kernarg_segment_size: 104
    .language:       OpenCL C
    .language_version:
      - 2
      - 0
    .max_flat_workgroup_size: 119
    .name:           bluestein_single_fwd_len1666_dim1_half_op_CI_CI
    .private_segment_fixed_size: 0
    .sgpr_count:     50
    .sgpr_spill_count: 0
    .symbol:         bluestein_single_fwd_len1666_dim1_half_op_CI_CI.kd
    .uniform_work_group_size: 1
    .uses_dynamic_stack: false
    .vgpr_count:     203
    .vgpr_spill_count: 0
    .wavefront_size: 64
amdhsa.target:   amdgcn-amd-amdhsa--gfx906
amdhsa.version:
  - 1
  - 2
...

	.end_amdgpu_metadata
